;; amdgpu-corpus repo=ROCm/rocFFT kind=compiled arch=gfx1201 opt=O3
	.text
	.amdgcn_target "amdgcn-amd-amdhsa--gfx1201"
	.amdhsa_code_object_version 6
	.protected	bluestein_single_back_len416_dim1_dp_op_CI_CI ; -- Begin function bluestein_single_back_len416_dim1_dp_op_CI_CI
	.globl	bluestein_single_back_len416_dim1_dp_op_CI_CI
	.p2align	8
	.type	bluestein_single_back_len416_dim1_dp_op_CI_CI,@function
bluestein_single_back_len416_dim1_dp_op_CI_CI: ; @bluestein_single_back_len416_dim1_dp_op_CI_CI
; %bb.0:
	s_load_b128 s[16:19], s[0:1], 0x28
	v_lshrrev_b32_e32 v1, 5, v0
	v_mov_b32_e32 v77, 0
	s_mov_b32 s2, exec_lo
	s_delay_alu instid0(VALU_DEP_2) | instskip(NEXT) | instid1(VALU_DEP_2)
	v_lshl_or_b32 v205, ttmp9, 1, v1
	v_mov_b32_e32 v206, v77
	s_wait_kmcnt 0x0
	s_delay_alu instid0(VALU_DEP_1)
	v_cmpx_gt_u64_e64 s[16:17], v[205:206]
	s_cbranch_execz .LBB0_18
; %bb.1:
	s_clause 0x1
	s_load_b128 s[4:7], s[0:1], 0x18
	s_load_b128 s[8:11], s[0:1], 0x0
	v_and_b32_e32 v204, 31, v0
	v_and_b32_e32 v0, 32, v0
	s_mov_b32 s28, 0x42a4c3d2
	s_mov_b32 s26, 0x66966769
	;; [unrolled: 1-line block ×3, first 2 shown]
	v_lshlrev_b32_e32 v232, 4, v204
	s_mov_b32 s22, 0x24c2f84
	s_mov_b32 s16, 0x4bc48dbf
	;; [unrolled: 1-line block ×12, first 2 shown]
	s_wait_kmcnt 0x0
	s_load_b128 s[12:15], s[4:5], 0x0
	s_mov_b32 s21, 0x3fe22d96
	s_mov_b32 s39, 0x3fe5384d
	;; [unrolled: 1-line block ×7, first 2 shown]
	s_wait_kmcnt 0x0
	v_mad_co_u64_u32 v[1:2], null, s14, v205, 0
	v_mad_co_u64_u32 v[3:4], null, s12, v204, 0
	s_lshl_b64 s[2:3], s[12:13], 9
	s_delay_alu instid0(VALU_DEP_1) | instskip(SKIP_2) | instid1(VALU_DEP_1)
	v_mad_co_u64_u32 v[5:6], null, s15, v205, v[2:3]
	s_mov_b32 s14, 0xb2365da1
	s_mov_b32 s15, 0xbfd6b1d8
	v_mad_co_u64_u32 v[6:7], null, s13, v204, v[4:5]
	v_mov_b32_e32 v2, v5
	s_mov_b32 s12, 0xd0032e0c
	s_mov_b32 s13, 0xbfe7f3cc
	s_delay_alu instid0(VALU_DEP_1) | instskip(NEXT) | instid1(VALU_DEP_3)
	v_lshlrev_b64_e32 v[1:2], 4, v[1:2]
	v_mov_b32_e32 v4, v6
	s_delay_alu instid0(VALU_DEP_2) | instskip(NEXT) | instid1(VALU_DEP_2)
	v_add_co_u32 v1, vcc_lo, s18, v1
	v_lshlrev_b64_e32 v[3:4], 4, v[3:4]
	s_delay_alu instid0(VALU_DEP_4) | instskip(SKIP_2) | instid1(VALU_DEP_2)
	v_add_co_ci_u32_e32 v2, vcc_lo, s19, v2, vcc_lo
	s_mov_b32 s18, 0xebaa3ed8
	s_mov_b32 s19, 0x3fbedb7d
	v_add_co_u32 v1, vcc_lo, v1, v3
	s_wait_alu 0xfffd
	v_add_co_ci_u32_e32 v2, vcc_lo, v2, v4, vcc_lo
	s_delay_alu instid0(VALU_DEP_2) | instskip(SKIP_1) | instid1(VALU_DEP_2)
	v_add_co_u32 v9, vcc_lo, v1, s2
	s_wait_alu 0xfffd
	v_add_co_ci_u32_e32 v10, vcc_lo, s3, v2, vcc_lo
	global_load_b128 v[13:16], v[1:2], off
	s_clause 0x1
	global_load_b128 v[5:8], v232, s[8:9]
	global_load_b128 v[1:4], v232, s[8:9] offset:512
	global_load_b128 v[17:20], v[9:10], off
	v_add_co_u32 v25, vcc_lo, v9, s2
	s_wait_alu 0xfffd
	v_add_co_ci_u32_e32 v26, vcc_lo, s3, v10, vcc_lo
	global_load_b128 v[21:24], v[25:26], off
	global_load_b128 v[9:12], v232, s[8:9] offset:1024
	v_add_co_u32 v25, vcc_lo, v25, s2
	s_wait_alu 0xfffd
	v_add_co_ci_u32_e32 v26, vcc_lo, s3, v26, vcc_lo
	s_wait_loadcnt 0x4
	v_mul_f64_e32 v[27:28], v[15:16], v[7:8]
	v_mul_f64_e32 v[29:30], v[13:14], v[7:8]
	s_wait_loadcnt 0x2
	v_mul_f64_e32 v[31:32], v[19:20], v[3:4]
	v_mul_f64_e32 v[33:34], v[17:18], v[3:4]
	s_clause 0x1
	scratch_store_b128 off, v[5:8], off offset:16
	scratch_store_b128 off, v[1:4], off
	v_fma_f64 v[53:54], v[13:14], v[5:6], v[27:28]
	v_fma_f64 v[55:56], v[15:16], v[5:6], -v[29:30]
	v_fma_f64 v[57:58], v[17:18], v[1:2], v[31:32]
	v_fma_f64 v[59:60], v[19:20], v[1:2], -v[33:34]
	s_wait_loadcnt 0x0
	v_mul_f64_e32 v[17:18], v[23:24], v[11:12]
	v_mul_f64_e32 v[19:20], v[21:22], v[11:12]
	global_load_b128 v[5:8], v232, s[8:9] offset:1536
	v_add_co_u32 v29, vcc_lo, v25, s2
	s_wait_alu 0xfffd
	v_add_co_ci_u32_e32 v30, vcc_lo, s3, v26, vcc_lo
	scratch_store_b128 off, v[9:12], off offset:32 ; 16-byte Folded Spill
	v_mul_u32_u24_e32 v1, 13, v204
	v_fma_f64 v[61:62], v[21:22], v[9:10], v[17:18]
	v_fma_f64 v[63:64], v[23:24], v[9:10], -v[19:20]
	s_clause 0x1
	global_load_b128 v[17:20], v[25:26], off
	global_load_b128 v[25:28], v[29:30], off
	v_add_co_u32 v29, vcc_lo, v29, s2
	s_wait_alu 0xfffd
	v_add_co_ci_u32_e32 v30, vcc_lo, s3, v30, vcc_lo
	s_delay_alu instid0(VALU_DEP_2) | instskip(SKIP_1) | instid1(VALU_DEP_2)
	v_add_co_u32 v37, vcc_lo, v29, s2
	s_wait_alu 0xfffd
	v_add_co_ci_u32_e32 v38, vcc_lo, s3, v30, vcc_lo
	s_wait_loadcnt 0x2
	scratch_store_b128 off, v[5:8], off offset:48 ; 16-byte Folded Spill
	s_wait_loadcnt 0x1
	v_mul_f64_e32 v[21:22], v[19:20], v[7:8]
	v_mul_f64_e32 v[23:24], v[17:18], v[7:8]
	s_delay_alu instid0(VALU_DEP_2) | instskip(NEXT) | instid1(VALU_DEP_2)
	v_fma_f64 v[65:66], v[17:18], v[5:6], v[21:22]
	v_fma_f64 v[67:68], v[19:20], v[5:6], -v[23:24]
	s_clause 0x1
	global_load_b128 v[17:20], v232, s[8:9] offset:2048
	global_load_b128 v[21:24], v232, s[8:9] offset:2560
	s_wait_loadcnt 0x1
	v_mul_f64_e32 v[31:32], v[27:28], v[19:20]
	v_mul_f64_e32 v[33:34], v[25:26], v[19:20]
	s_delay_alu instid0(VALU_DEP_2) | instskip(NEXT) | instid1(VALU_DEP_2)
	v_fma_f64 v[69:70], v[25:26], v[17:18], v[31:32]
	v_fma_f64 v[71:72], v[27:28], v[17:18], -v[33:34]
	global_load_b128 v[25:28], v[29:30], off
	s_wait_loadcnt 0x0
	v_mul_f64_e32 v[31:32], v[27:28], v[23:24]
	v_mul_f64_e32 v[33:34], v[25:26], v[23:24]
	s_delay_alu instid0(VALU_DEP_2) | instskip(NEXT) | instid1(VALU_DEP_2)
	v_fma_f64 v[73:74], v[25:26], v[21:22], v[31:32]
	v_fma_f64 v[75:76], v[27:28], v[21:22], -v[33:34]
	global_load_b128 v[33:36], v[37:38], off
	s_clause 0x1
	global_load_b128 v[25:28], v232, s[8:9] offset:3072
	global_load_b128 v[29:32], v232, s[8:9] offset:3584
	v_add_co_u32 v37, vcc_lo, v37, s2
	s_wait_alu 0xfffd
	v_add_co_ci_u32_e32 v38, vcc_lo, s3, v38, vcc_lo
	s_delay_alu instid0(VALU_DEP_2) | instskip(SKIP_1) | instid1(VALU_DEP_2)
	v_add_co_u32 v45, vcc_lo, v37, s2
	s_wait_alu 0xfffd
	v_add_co_ci_u32_e32 v46, vcc_lo, s3, v38, vcc_lo
	s_wait_loadcnt 0x1
	v_mul_f64_e32 v[39:40], v[35:36], v[27:28]
	v_mul_f64_e32 v[41:42], v[33:34], v[27:28]
	s_delay_alu instid0(VALU_DEP_2) | instskip(NEXT) | instid1(VALU_DEP_2)
	v_fma_f64 v[78:79], v[33:34], v[25:26], v[39:40]
	v_fma_f64 v[80:81], v[35:36], v[25:26], -v[41:42]
	global_load_b128 v[33:36], v[37:38], off
	s_wait_loadcnt 0x0
	v_mul_f64_e32 v[39:40], v[35:36], v[31:32]
	v_mul_f64_e32 v[41:42], v[33:34], v[31:32]
	s_delay_alu instid0(VALU_DEP_2) | instskip(NEXT) | instid1(VALU_DEP_2)
	v_fma_f64 v[82:83], v[33:34], v[29:30], v[39:40]
	v_fma_f64 v[84:85], v[35:36], v[29:30], -v[41:42]
	global_load_b128 v[41:44], v[45:46], off
	s_clause 0x1
	global_load_b128 v[33:36], v232, s[8:9] offset:4096
	global_load_b128 v[37:40], v232, s[8:9] offset:4608
	v_add_co_u32 v45, vcc_lo, v45, s2
	s_wait_alu 0xfffd
	v_add_co_ci_u32_e32 v46, vcc_lo, s3, v46, vcc_lo
	s_delay_alu instid0(VALU_DEP_2) | instskip(SKIP_1) | instid1(VALU_DEP_2)
	v_add_co_u32 v98, vcc_lo, v45, s2
	s_wait_alu 0xfffd
	v_add_co_ci_u32_e32 v99, vcc_lo, s3, v46, vcc_lo
	s_delay_alu instid0(VALU_DEP_2) | instskip(SKIP_1) | instid1(VALU_DEP_2)
	v_add_co_u32 v102, vcc_lo, v98, s2
	s_wait_alu 0xfffd
	v_add_co_ci_u32_e32 v103, vcc_lo, s3, v99, vcc_lo
	s_wait_loadcnt 0x1
	v_mul_f64_e32 v[47:48], v[43:44], v[35:36]
	v_mul_f64_e32 v[49:50], v[41:42], v[35:36]
	s_delay_alu instid0(VALU_DEP_2) | instskip(NEXT) | instid1(VALU_DEP_2)
	v_fma_f64 v[86:87], v[41:42], v[33:34], v[47:48]
	v_fma_f64 v[88:89], v[43:44], v[33:34], -v[49:50]
	global_load_b128 v[41:44], v[45:46], off
	s_wait_loadcnt 0x0
	v_mul_f64_e32 v[47:48], v[43:44], v[39:40]
	v_mul_f64_e32 v[49:50], v[41:42], v[39:40]
	s_delay_alu instid0(VALU_DEP_2) | instskip(NEXT) | instid1(VALU_DEP_2)
	v_fma_f64 v[90:91], v[41:42], v[37:38], v[47:48]
	v_fma_f64 v[92:93], v[43:44], v[37:38], -v[49:50]
	global_load_b128 v[49:52], v[98:99], off
	s_clause 0x1
	global_load_b128 v[41:44], v232, s[8:9] offset:5120
	global_load_b128 v[45:48], v232, s[8:9] offset:5632
	s_wait_loadcnt 0x1
	v_mul_f64_e32 v[94:95], v[51:52], v[43:44]
	v_mul_f64_e32 v[96:97], v[49:50], v[43:44]
	s_delay_alu instid0(VALU_DEP_2) | instskip(NEXT) | instid1(VALU_DEP_2)
	v_fma_f64 v[94:95], v[49:50], v[41:42], v[94:95]
	v_fma_f64 v[96:97], v[51:52], v[41:42], -v[96:97]
	global_load_b128 v[49:52], v[102:103], off
	s_wait_loadcnt 0x0
	v_mul_f64_e32 v[98:99], v[51:52], v[47:48]
	v_mul_f64_e32 v[100:101], v[49:50], v[47:48]
	s_delay_alu instid0(VALU_DEP_2) | instskip(SKIP_3) | instid1(VALU_DEP_4)
	v_fma_f64 v[98:99], v[49:50], v[45:46], v[98:99]
	v_add_co_u32 v49, vcc_lo, v102, s2
	s_wait_alu 0xfffd
	v_add_co_ci_u32_e32 v50, vcc_lo, s3, v103, vcc_lo
	v_fma_f64 v[100:101], v[51:52], v[45:46], -v[100:101]
	global_load_b128 v[102:105], v[49:50], off
	global_load_b128 v[49:52], v232, s[8:9] offset:6144
	v_cmp_ne_u32_e32 vcc_lo, 0, v0
	s_mov_b32 s2, 0x93053d00
	s_mov_b32 s3, 0xbfef11f4
	s_wait_alu 0xfffd
	v_cndmask_b32_e64 v240, 0, 0x1a0, vcc_lo
	s_delay_alu instid0(VALU_DEP_1) | instskip(NEXT) | instid1(VALU_DEP_1)
	v_or_b32_e32 v0, v240, v204
	v_lshlrev_b32_e32 v239, 4, v0
	v_lshl_or_b32 v0, v240, 4, v232
	ds_store_b128 v239, v[53:56]
	s_wait_loadcnt 0x0
	v_mul_f64_e32 v[106:107], v[104:105], v[51:52]
	v_mul_f64_e32 v[108:109], v[102:103], v[51:52]
	s_delay_alu instid0(VALU_DEP_2) | instskip(NEXT) | instid1(VALU_DEP_2)
	v_fma_f64 v[102:103], v[102:103], v[49:50], v[106:107]
	v_fma_f64 v[104:105], v[104:105], v[49:50], -v[108:109]
	ds_store_b128 v0, v[57:60] offset:512
	ds_store_b128 v0, v[61:64] offset:1024
	;; [unrolled: 1-line block ×12, first 2 shown]
	s_load_b128 s[4:7], s[6:7], 0x0
	global_wb scope:SCOPE_SE
	s_wait_storecnt_dscnt 0x0
	s_wait_kmcnt 0x0
	s_barrier_signal -1
	s_barrier_wait -1
	global_inv scope:SCOPE_SE
	ds_load_b128 v[53:56], v239
	ds_load_b128 v[57:60], v0 offset:512
	ds_load_b128 v[61:64], v0 offset:1024
	;; [unrolled: 1-line block ×3, first 2 shown]
	s_wait_dscnt 0x2
	v_add_f64_e32 v[69:70], v[53:54], v[57:58]
	v_add_f64_e32 v[71:72], v[55:56], v[59:60]
	s_wait_dscnt 0x1
	s_delay_alu instid0(VALU_DEP_2) | instskip(NEXT) | instid1(VALU_DEP_2)
	v_add_f64_e32 v[69:70], v[69:70], v[61:62]
	v_add_f64_e32 v[71:72], v[71:72], v[63:64]
	s_wait_dscnt 0x0
	s_delay_alu instid0(VALU_DEP_2) | instskip(NEXT) | instid1(VALU_DEP_2)
	v_add_f64_e32 v[78:79], v[69:70], v[65:66]
	v_add_f64_e32 v[80:81], v[71:72], v[67:68]
	ds_load_b128 v[69:72], v0 offset:2048
	ds_load_b128 v[73:76], v0 offset:2560
	;; [unrolled: 1-line block ×6, first 2 shown]
	s_wait_dscnt 0x5
	v_add_f64_e32 v[78:79], v[78:79], v[69:70]
	v_add_f64_e32 v[80:81], v[80:81], v[71:72]
	s_wait_dscnt 0x4
	s_delay_alu instid0(VALU_DEP_2) | instskip(NEXT) | instid1(VALU_DEP_2)
	v_add_f64_e32 v[78:79], v[78:79], v[73:74]
	v_add_f64_e32 v[80:81], v[80:81], v[75:76]
	s_wait_dscnt 0x3
	s_delay_alu instid0(VALU_DEP_2) | instskip(NEXT) | instid1(VALU_DEP_2)
	v_add_f64_e32 v[90:91], v[78:79], v[82:83]
	v_add_f64_e32 v[92:93], v[80:81], v[84:85]
	s_wait_dscnt 0x2
	v_add_f64_e32 v[78:79], v[82:83], v[86:87]
	v_add_f64_e32 v[80:81], v[84:85], v[88:89]
	v_add_f64_e64 v[82:83], v[82:83], -v[86:87]
	v_add_f64_e64 v[84:85], v[84:85], -v[88:89]
	v_add_f64_e32 v[102:103], v[90:91], v[86:87]
	v_add_f64_e32 v[104:105], v[92:93], v[88:89]
	s_wait_dscnt 0x1
	v_add_f64_e32 v[86:87], v[73:74], v[94:95]
	v_add_f64_e32 v[88:89], v[75:76], v[96:97]
	v_add_f64_e64 v[90:91], v[73:74], -v[94:95]
	v_add_f64_e64 v[92:93], v[75:76], -v[96:97]
	s_wait_dscnt 0x0
	v_add_f64_e32 v[73:74], v[69:70], v[98:99]
	v_add_f64_e32 v[75:76], v[71:72], v[100:101]
	v_add_f64_e64 v[69:70], v[69:70], -v[98:99]
	v_add_f64_e64 v[71:72], v[71:72], -v[100:101]
	v_mul_f64_e32 v[192:193], s[22:23], v[84:85]
	v_mul_f64_e32 v[194:195], s[22:23], v[82:83]
	;; [unrolled: 1-line block ×4, first 2 shown]
	v_add_f64_e32 v[94:95], v[102:103], v[94:95]
	v_add_f64_e32 v[96:97], v[104:105], v[96:97]
	v_mul_f64_e32 v[170:171], s[36:37], v[90:91]
	v_mul_f64_e32 v[168:169], s[36:37], v[92:93]
	;; [unrolled: 1-line block ×8, first 2 shown]
	v_add_f64_e32 v[102:103], v[94:95], v[98:99]
	v_add_f64_e32 v[104:105], v[96:97], v[100:101]
	ds_load_b128 v[94:97], v0 offset:5120
	ds_load_b128 v[98:101], v0 offset:5632
	s_wait_dscnt 0x1
	v_add_f64_e32 v[126:127], v[65:66], v[94:95]
	v_add_f64_e32 v[128:129], v[67:68], v[96:97]
	v_add_f64_e64 v[130:131], v[65:66], -v[94:95]
	v_add_f64_e64 v[132:133], v[67:68], -v[96:97]
	s_wait_dscnt 0x0
	v_add_f64_e64 v[134:135], v[61:62], -v[98:99]
	v_add_f64_e64 v[136:137], v[63:64], -v[100:101]
	v_add_f64_e32 v[138:139], v[61:62], v[98:99]
	v_add_f64_e32 v[140:141], v[63:64], v[100:101]
	ds_load_b128 v[61:64], v0 offset:6144
	global_wb scope:SCOPE_SE
	s_wait_dscnt 0x0
	s_barrier_signal -1
	s_barrier_wait -1
	global_inv scope:SCOPE_SE
	v_add_f64_e32 v[65:66], v[102:103], v[94:95]
	v_add_f64_e32 v[67:68], v[104:105], v[96:97]
	v_add_f64_e64 v[94:95], v[59:60], -v[63:64]
	v_add_f64_e64 v[96:97], v[57:58], -v[61:62]
	v_mul_f64_e32 v[162:163], s[16:17], v[130:131]
	v_mul_f64_e32 v[160:161], s[16:17], v[132:133]
	;; [unrolled: 1-line block ×8, first 2 shown]
	s_mov_b32 s39, 0x3fcea1e5
	s_mov_b32 s38, s16
	;; [unrolled: 1-line block ×3, first 2 shown]
	s_wait_alu 0xfffe
	v_mul_f64_e32 v[210:211], s[38:39], v[92:93]
	v_mul_f64_e32 v[212:213], s[38:39], v[90:91]
	s_mov_b32 s40, s28
	v_mul_f64_e32 v[218:219], s[36:37], v[136:137]
	v_add_f64_e32 v[65:66], v[65:66], v[98:99]
	v_add_f64_e32 v[67:68], v[67:68], v[100:101]
	;; [unrolled: 1-line block ×4, first 2 shown]
	s_wait_alu 0xfffe
	v_mul_f64_e32 v[214:215], s[40:41], v[84:85]
	v_mul_f64_e32 v[216:217], s[40:41], v[82:83]
	;; [unrolled: 1-line block ×10, first 2 shown]
	v_add_f64_e32 v[57:58], v[65:66], v[61:62]
	v_add_f64_e32 v[59:60], v[67:68], v[63:64]
	v_mul_f64_e32 v[61:62], s[34:35], v[94:95]
	v_mul_f64_e32 v[63:64], s[28:29], v[94:95]
	;; [unrolled: 1-line block ×5, first 2 shown]
	v_fma_f64 v[112:113], v[98:99], s[12:13], -v[102:103]
	v_fma_f64 v[102:103], v[98:99], s[12:13], v[102:103]
	v_fma_f64 v[148:149], v[100:101], s[12:13], v[122:123]
	;; [unrolled: 1-line block ×4, first 2 shown]
	v_fma_f64 v[116:117], v[100:101], s[20:21], -v[116:117]
	v_fma_f64 v[144:145], v[100:101], s[18:19], v[118:119]
	v_fma_f64 v[118:119], v[100:101], s[18:19], -v[118:119]
	v_fma_f64 v[120:121], v[100:101], s[14:15], -v[120:121]
	;; [unrolled: 1-line block ×4, first 2 shown]
	v_fma_f64 v[61:62], v[98:99], s[30:31], v[61:62]
	v_fma_f64 v[106:107], v[98:99], s[20:21], -v[63:64]
	v_fma_f64 v[63:64], v[98:99], s[20:21], v[63:64]
	v_fma_f64 v[108:109], v[98:99], s[18:19], -v[65:66]
	;; [unrolled: 2-line block ×4, first 2 shown]
	v_fma_f64 v[94:95], v[98:99], s[2:3], v[94:95]
	v_mul_f64_e32 v[98:99], s[34:35], v[96:97]
	v_mul_f64_e32 v[96:97], s[16:17], v[96:97]
	s_mov_b32 s35, 0x3fddbe06
	s_wait_alu 0xfffe
	v_mul_f64_e32 v[172:173], s[34:35], v[84:85]
	v_mul_f64_e32 v[174:175], s[34:35], v[82:83]
	;; [unrolled: 1-line block ×5, first 2 shown]
	v_add_f64_e32 v[118:119], v[55:56], v[118:119]
	v_add_f64_e32 v[120:121], v[55:56], v[120:121]
	;; [unrolled: 1-line block ×3, first 2 shown]
	v_mul_f64_e32 v[202:203], s[34:35], v[130:131]
	v_mul_f64_e32 v[226:227], s[34:35], v[92:93]
	;; [unrolled: 1-line block ×3, first 2 shown]
	v_add_f64_e32 v[152:153], v[53:54], v[104:105]
	v_add_f64_e32 v[156:157], v[53:54], v[61:62]
	;; [unrolled: 1-line block ×8, first 2 shown]
	v_mul_f64_e32 v[148:149], s[24:25], v[136:137]
	v_fma_f64 v[124:125], v[100:101], s[30:31], v[98:99]
	v_fma_f64 v[150:151], v[100:101], s[2:3], v[96:97]
	v_fma_f64 v[98:99], v[100:101], s[30:31], -v[98:99]
	v_fma_f64 v[96:97], v[100:101], s[2:3], -v[96:97]
	v_add_f64_e32 v[100:101], v[53:54], v[108:109]
	v_add_f64_e32 v[108:109], v[55:56], v[146:147]
	;; [unrolled: 1-line block ×4, first 2 shown]
	v_fma_f64 v[65:66], v[126:127], s[2:3], -v[160:161]
	v_add_f64_e32 v[154:155], v[55:56], v[124:125]
	v_add_f64_e32 v[124:125], v[53:54], v[63:64]
	;; [unrolled: 1-line block ×3, first 2 shown]
	v_fma_f64 v[63:64], v[138:139], s[14:15], -v[148:149]
	v_mul_f64_e32 v[150:151], s[24:25], v[134:135]
	v_add_f64_e32 v[158:159], v[55:56], v[98:99]
	v_add_f64_e32 v[98:99], v[55:56], v[142:143]
	v_add_f64_e32 v[142:143], v[55:56], v[116:117]
	v_add_f64_e32 v[116:117], v[53:54], v[67:68]
	v_add_f64_e32 v[53:54], v[53:54], v[94:95]
	v_fma_f64 v[67:68], v[140:141], s[2:3], v[178:179]
	v_fma_f64 v[94:95], v[126:127], s[14:15], -v[180:181]
	v_add_f64_e32 v[55:56], v[55:56], v[96:97]
	v_fma_f64 v[96:97], v[140:141], s[12:13], v[198:199]
	v_add_f64_e32 v[61:62], v[63:64], v[61:62]
	v_fma_f64 v[63:64], v[140:141], s[14:15], v[150:151]
	v_add_f64_e32 v[67:68], v[67:68], v[104:105]
	s_delay_alu instid0(VALU_DEP_4)
	v_add_f64_e32 v[96:97], v[96:97], v[108:109]
	v_mul_f64_e32 v[108:109], s[34:35], v[134:135]
	v_add_f64_e32 v[61:62], v[65:66], v[61:62]
	v_add_f64_e32 v[63:64], v[63:64], v[98:99]
	v_fma_f64 v[65:66], v[128:129], s[2:3], v[162:163]
	v_fma_f64 v[98:99], v[126:127], s[30:31], -v[200:201]
	s_delay_alu instid0(VALU_DEP_2) | instskip(SKIP_1) | instid1(VALU_DEP_1)
	v_add_f64_e32 v[63:64], v[65:66], v[63:64]
	v_fma_f64 v[65:66], v[73:74], s[12:13], -v[164:165]
	v_add_f64_e32 v[61:62], v[65:66], v[61:62]
	v_fma_f64 v[65:66], v[75:76], s[12:13], v[166:167]
	s_delay_alu instid0(VALU_DEP_1) | instskip(SKIP_1) | instid1(VALU_DEP_1)
	v_add_f64_e32 v[63:64], v[65:66], v[63:64]
	v_fma_f64 v[65:66], v[86:87], s[18:19], -v[168:169]
	v_add_f64_e32 v[61:62], v[65:66], v[61:62]
	v_fma_f64 v[65:66], v[88:89], s[18:19], v[170:171]
	s_delay_alu instid0(VALU_DEP_1) | instskip(SKIP_1) | instid1(VALU_DEP_1)
	;; [unrolled: 5-line block ×3, first 2 shown]
	v_add_f64_e32 v[63:64], v[65:66], v[63:64]
	v_fma_f64 v[65:66], v[138:139], s[2:3], -v[176:177]
	v_add_f64_e32 v[65:66], v[65:66], v[100:101]
	s_delay_alu instid0(VALU_DEP_1) | instskip(SKIP_1) | instid1(VALU_DEP_1)
	v_add_f64_e32 v[65:66], v[94:95], v[65:66]
	v_fma_f64 v[94:95], v[128:129], s[14:15], v[182:183]
	v_add_f64_e32 v[67:68], v[94:95], v[67:68]
	v_fma_f64 v[94:95], v[73:74], s[30:31], -v[184:185]
	s_delay_alu instid0(VALU_DEP_1) | instskip(SKIP_1) | instid1(VALU_DEP_1)
	v_add_f64_e32 v[65:66], v[94:95], v[65:66]
	v_fma_f64 v[94:95], v[75:76], s[30:31], v[186:187]
	v_add_f64_e32 v[67:68], v[94:95], v[67:68]
	v_fma_f64 v[94:95], v[86:87], s[20:21], -v[188:189]
	;; [unrolled: 5-line block ×4, first 2 shown]
	s_delay_alu instid0(VALU_DEP_1) | instskip(SKIP_1) | instid1(VALU_DEP_2)
	v_add_f64_e32 v[94:95], v[94:95], v[106:107]
	v_mul_f64_e32 v[106:107], s[34:35], v[136:137]
	v_add_f64_e32 v[94:95], v[98:99], v[94:95]
	v_fma_f64 v[98:99], v[128:129], s[30:31], v[202:203]
	s_delay_alu instid0(VALU_DEP_1) | instskip(SKIP_1) | instid1(VALU_DEP_1)
	v_add_f64_e32 v[96:97], v[98:99], v[96:97]
	v_fma_f64 v[98:99], v[73:74], s[18:19], -v[206:207]
	v_add_f64_e32 v[94:95], v[98:99], v[94:95]
	v_fma_f64 v[98:99], v[75:76], s[18:19], v[208:209]
	s_delay_alu instid0(VALU_DEP_1) | instskip(SKIP_1) | instid1(VALU_DEP_1)
	v_add_f64_e32 v[96:97], v[98:99], v[96:97]
	v_fma_f64 v[98:99], v[86:87], s[2:3], -v[210:211]
	v_add_f64_e32 v[94:95], v[98:99], v[94:95]
	v_fma_f64 v[98:99], v[88:89], s[2:3], v[212:213]
	s_delay_alu instid0(VALU_DEP_1) | instskip(SKIP_1) | instid1(VALU_DEP_1)
	v_add_f64_e32 v[96:97], v[98:99], v[96:97]
	v_fma_f64 v[98:99], v[78:79], s[20:21], -v[214:215]
	v_add_f64_e32 v[94:95], v[98:99], v[94:95]
	v_fma_f64 v[98:99], v[80:81], s[20:21], v[216:217]
	s_delay_alu instid0(VALU_DEP_1) | instskip(SKIP_1) | instid1(VALU_DEP_1)
	v_add_f64_e32 v[96:97], v[98:99], v[96:97]
	v_fma_f64 v[98:99], v[138:139], s[18:19], -v[218:219]
	v_add_f64_e32 v[98:99], v[98:99], v[110:111]
	v_mul_f64_e32 v[110:111], s[36:37], v[134:135]
	v_mul_f64_e32 v[134:135], s[28:29], v[134:135]
	s_delay_alu instid0(VALU_DEP_2) | instskip(NEXT) | instid1(VALU_DEP_1)
	v_fma_f64 v[100:101], v[140:141], s[18:19], v[110:111]
	v_add_f64_e32 v[100:101], v[100:101], v[112:113]
	v_mul_f64_e32 v[112:113], s[28:29], v[132:133]
	s_delay_alu instid0(VALU_DEP_1) | instskip(NEXT) | instid1(VALU_DEP_1)
	v_fma_f64 v[104:105], v[126:127], s[20:21], -v[112:113]
	v_add_f64_e32 v[98:99], v[104:105], v[98:99]
	v_fma_f64 v[104:105], v[128:129], s[20:21], v[220:221]
	s_delay_alu instid0(VALU_DEP_1) | instskip(SKIP_1) | instid1(VALU_DEP_1)
	v_add_f64_e32 v[100:101], v[104:105], v[100:101]
	v_fma_f64 v[104:105], v[73:74], s[2:3], -v[222:223]
	v_add_f64_e32 v[98:99], v[104:105], v[98:99]
	v_fma_f64 v[104:105], v[75:76], s[2:3], v[224:225]
	s_delay_alu instid0(VALU_DEP_1) | instskip(SKIP_1) | instid1(VALU_DEP_1)
	v_add_f64_e32 v[100:101], v[104:105], v[100:101]
	;; [unrolled: 5-line block ×3, first 2 shown]
	v_fma_f64 v[104:105], v[78:79], s[14:15], -v[233:234]
	v_add_f64_e32 v[98:99], v[104:105], v[98:99]
	v_fma_f64 v[104:105], v[80:81], s[14:15], v[235:236]
	s_delay_alu instid0(VALU_DEP_1) | instskip(SKIP_2) | instid1(VALU_DEP_2)
	v_add_f64_e32 v[100:101], v[104:105], v[100:101]
	v_fma_f64 v[104:105], v[138:139], s[30:31], -v[106:107]
	v_fma_f64 v[106:107], v[138:139], s[30:31], v[106:107]
	v_add_f64_e32 v[102:103], v[104:105], v[102:103]
	v_fma_f64 v[104:105], v[140:141], s[30:31], v[108:109]
	s_delay_alu instid0(VALU_DEP_3) | instskip(SKIP_1) | instid1(VALU_DEP_3)
	v_add_f64_e32 v[53:54], v[106:107], v[53:54]
	v_fma_f64 v[106:107], v[140:141], s[30:31], -v[108:109]
	v_add_f64_e32 v[104:105], v[104:105], v[114:115]
	v_mul_f64_e32 v[114:115], s[22:23], v[132:133]
	s_delay_alu instid0(VALU_DEP_3) | instskip(SKIP_1) | instid1(VALU_DEP_3)
	v_add_f64_e32 v[55:56], v[106:107], v[55:56]
	v_mul_f64_e32 v[132:133], s[26:27], v[132:133]
	v_fma_f64 v[237:238], v[126:127], s[12:13], -v[114:115]
	v_fma_f64 v[106:107], v[126:127], s[12:13], v[114:115]
	v_fma_f64 v[114:115], v[126:127], s[30:31], v[200:201]
	s_delay_alu instid0(VALU_DEP_3) | instskip(SKIP_1) | instid1(VALU_DEP_4)
	v_add_f64_e32 v[102:103], v[237:238], v[102:103]
	v_mul_f64_e32 v[237:238], s[22:23], v[130:131]
	v_add_f64_e32 v[53:54], v[106:107], v[53:54]
	v_mul_f64_e32 v[130:131], s[26:27], v[130:131]
	s_delay_alu instid0(VALU_DEP_3) | instskip(SKIP_1) | instid1(VALU_DEP_2)
	v_fma_f64 v[241:242], v[128:129], s[12:13], v[237:238]
	v_fma_f64 v[106:107], v[128:129], s[12:13], -v[237:238]
	v_add_f64_e32 v[104:105], v[241:242], v[104:105]
	v_mul_f64_e32 v[241:242], s[40:41], v[71:72]
	s_delay_alu instid0(VALU_DEP_3) | instskip(NEXT) | instid1(VALU_DEP_2)
	v_add_f64_e32 v[55:56], v[106:107], v[55:56]
	v_fma_f64 v[243:244], v[73:74], s[20:21], -v[241:242]
	v_fma_f64 v[106:107], v[73:74], s[20:21], v[241:242]
	s_delay_alu instid0(VALU_DEP_2) | instskip(SKIP_1) | instid1(VALU_DEP_3)
	v_add_f64_e32 v[102:103], v[243:244], v[102:103]
	v_mul_f64_e32 v[243:244], s[40:41], v[69:70]
	v_add_f64_e32 v[53:54], v[106:107], v[53:54]
	s_delay_alu instid0(VALU_DEP_2) | instskip(SKIP_1) | instid1(VALU_DEP_2)
	v_fma_f64 v[245:246], v[75:76], s[20:21], v[243:244]
	v_fma_f64 v[106:107], v[75:76], s[20:21], -v[243:244]
	v_add_f64_e32 v[104:105], v[245:246], v[104:105]
	v_mul_f64_e32 v[245:246], s[24:25], v[92:93]
	s_delay_alu instid0(VALU_DEP_3) | instskip(SKIP_1) | instid1(VALU_DEP_3)
	v_add_f64_e32 v[55:56], v[106:107], v[55:56]
	v_mul_f64_e32 v[92:93], s[22:23], v[92:93]
	v_fma_f64 v[247:248], v[86:87], s[14:15], -v[245:246]
	v_fma_f64 v[106:107], v[86:87], s[14:15], v[245:246]
	s_delay_alu instid0(VALU_DEP_2) | instskip(SKIP_1) | instid1(VALU_DEP_3)
	v_add_f64_e32 v[102:103], v[247:248], v[102:103]
	v_mul_f64_e32 v[247:248], s[24:25], v[90:91]
	v_add_f64_e32 v[53:54], v[106:107], v[53:54]
	v_mul_f64_e32 v[90:91], s[22:23], v[90:91]
	s_delay_alu instid0(VALU_DEP_3) | instskip(SKIP_1) | instid1(VALU_DEP_2)
	v_fma_f64 v[249:250], v[88:89], s[14:15], v[247:248]
	v_fma_f64 v[106:107], v[88:89], s[14:15], -v[247:248]
	v_add_f64_e32 v[104:105], v[249:250], v[104:105]
	v_mul_f64_e32 v[249:250], s[36:37], v[84:85]
	s_delay_alu instid0(VALU_DEP_3) | instskip(SKIP_1) | instid1(VALU_DEP_3)
	v_add_f64_e32 v[55:56], v[106:107], v[55:56]
	v_mul_f64_e32 v[84:85], s[16:17], v[84:85]
	v_fma_f64 v[251:252], v[78:79], s[18:19], -v[249:250]
	v_fma_f64 v[106:107], v[78:79], s[18:19], v[249:250]
	s_delay_alu instid0(VALU_DEP_2) | instskip(SKIP_1) | instid1(VALU_DEP_3)
	v_add_f64_e32 v[102:103], v[251:252], v[102:103]
	v_mul_f64_e32 v[251:252], s[36:37], v[82:83]
	v_add_f64_e32 v[106:107], v[106:107], v[53:54]
	v_fma_f64 v[53:54], v[138:139], s[18:19], v[218:219]
	v_mul_f64_e32 v[82:83], s[16:17], v[82:83]
	s_delay_alu instid0(VALU_DEP_4) | instskip(SKIP_1) | instid1(VALU_DEP_4)
	v_fma_f64 v[108:109], v[80:81], s[18:19], -v[251:252]
	v_fma_f64 v[253:254], v[80:81], s[18:19], v[251:252]
	v_add_f64_e32 v[53:54], v[53:54], v[146:147]
	s_delay_alu instid0(VALU_DEP_3) | instskip(SKIP_4) | instid1(VALU_DEP_4)
	v_add_f64_e32 v[108:109], v[108:109], v[55:56]
	v_fma_f64 v[55:56], v[140:141], s[18:19], -v[110:111]
	v_fma_f64 v[110:111], v[126:127], s[20:21], v[112:113]
	v_fma_f64 v[112:113], v[80:81], s[14:15], -v[235:236]
	v_add_f64_e32 v[104:105], v[253:254], v[104:105]
	v_add_f64_e32 v[55:56], v[55:56], v[122:123]
	s_delay_alu instid0(VALU_DEP_4) | instskip(SKIP_2) | instid1(VALU_DEP_2)
	v_add_f64_e32 v[53:54], v[110:111], v[53:54]
	v_fma_f64 v[110:111], v[128:129], s[20:21], -v[220:221]
	v_fma_f64 v[122:123], v[126:127], s[2:3], v[160:161]
	v_add_f64_e32 v[55:56], v[110:111], v[55:56]
	v_fma_f64 v[110:111], v[73:74], s[2:3], v[222:223]
	s_delay_alu instid0(VALU_DEP_1) | instskip(SKIP_1) | instid1(VALU_DEP_1)
	v_add_f64_e32 v[53:54], v[110:111], v[53:54]
	v_fma_f64 v[110:111], v[75:76], s[2:3], -v[224:225]
	v_add_f64_e32 v[55:56], v[110:111], v[55:56]
	v_fma_f64 v[110:111], v[86:87], s[30:31], v[226:227]
	s_delay_alu instid0(VALU_DEP_1) | instskip(SKIP_2) | instid1(VALU_DEP_2)
	v_add_f64_e32 v[53:54], v[110:111], v[53:54]
	v_fma_f64 v[110:111], v[88:89], s[30:31], -v[230:231]
	v_add_lshl_u32 v230, v240, v1, 4
	v_add_f64_e32 v[55:56], v[110:111], v[55:56]
	v_fma_f64 v[110:111], v[78:79], s[14:15], v[233:234]
	s_delay_alu instid0(VALU_DEP_2) | instskip(NEXT) | instid1(VALU_DEP_2)
	v_add_f64_e32 v[112:113], v[112:113], v[55:56]
	v_add_f64_e32 v[110:111], v[110:111], v[53:54]
	v_fma_f64 v[53:54], v[138:139], s[12:13], v[196:197]
	v_fma_f64 v[55:56], v[140:141], s[12:13], -v[198:199]
	s_delay_alu instid0(VALU_DEP_2) | instskip(NEXT) | instid1(VALU_DEP_2)
	v_add_f64_e32 v[53:54], v[53:54], v[116:117]
	v_add_f64_e32 v[55:56], v[55:56], v[120:121]
	v_fma_f64 v[116:117], v[80:81], s[20:21], -v[216:217]
	v_fma_f64 v[120:121], v[80:81], s[12:13], -v[194:195]
	s_delay_alu instid0(VALU_DEP_4) | instskip(SKIP_1) | instid1(VALU_DEP_1)
	v_add_f64_e32 v[53:54], v[114:115], v[53:54]
	v_fma_f64 v[114:115], v[128:129], s[30:31], -v[202:203]
	v_add_f64_e32 v[55:56], v[114:115], v[55:56]
	v_fma_f64 v[114:115], v[73:74], s[18:19], v[206:207]
	s_delay_alu instid0(VALU_DEP_1) | instskip(SKIP_1) | instid1(VALU_DEP_1)
	v_add_f64_e32 v[53:54], v[114:115], v[53:54]
	v_fma_f64 v[114:115], v[75:76], s[18:19], -v[208:209]
	v_add_f64_e32 v[55:56], v[114:115], v[55:56]
	v_fma_f64 v[114:115], v[86:87], s[2:3], v[210:211]
	s_delay_alu instid0(VALU_DEP_1) | instskip(SKIP_1) | instid1(VALU_DEP_1)
	v_add_f64_e32 v[53:54], v[114:115], v[53:54]
	v_fma_f64 v[114:115], v[88:89], s[2:3], -v[212:213]
	v_add_f64_e32 v[55:56], v[114:115], v[55:56]
	v_fma_f64 v[114:115], v[78:79], s[20:21], v[214:215]
	s_delay_alu instid0(VALU_DEP_2) | instskip(NEXT) | instid1(VALU_DEP_2)
	v_add_f64_e32 v[116:117], v[116:117], v[55:56]
	v_add_f64_e32 v[114:115], v[114:115], v[53:54]
	v_fma_f64 v[53:54], v[138:139], s[2:3], v[176:177]
	v_fma_f64 v[55:56], v[140:141], s[2:3], -v[178:179]
	s_delay_alu instid0(VALU_DEP_2) | instskip(NEXT) | instid1(VALU_DEP_2)
	v_add_f64_e32 v[53:54], v[53:54], v[144:145]
	v_add_f64_e32 v[55:56], v[55:56], v[118:119]
	v_fma_f64 v[118:119], v[126:127], s[14:15], v[180:181]
	v_mul_f64_e32 v[144:145], s[24:25], v[69:70]
	s_delay_alu instid0(VALU_DEP_2) | instskip(SKIP_1) | instid1(VALU_DEP_3)
	v_add_f64_e32 v[53:54], v[118:119], v[53:54]
	v_fma_f64 v[118:119], v[128:129], s[14:15], -v[182:183]
	v_fma_f64 v[69:70], v[75:76], s[14:15], v[144:145]
	s_delay_alu instid0(VALU_DEP_2) | instskip(SKIP_1) | instid1(VALU_DEP_1)
	v_add_f64_e32 v[55:56], v[118:119], v[55:56]
	v_fma_f64 v[118:119], v[73:74], s[30:31], v[184:185]
	v_add_f64_e32 v[53:54], v[118:119], v[53:54]
	v_fma_f64 v[118:119], v[75:76], s[30:31], -v[186:187]
	s_delay_alu instid0(VALU_DEP_1) | instskip(SKIP_1) | instid1(VALU_DEP_1)
	v_add_f64_e32 v[55:56], v[118:119], v[55:56]
	v_fma_f64 v[118:119], v[86:87], s[20:21], v[188:189]
	v_add_f64_e32 v[53:54], v[118:119], v[53:54]
	v_fma_f64 v[118:119], v[88:89], s[20:21], -v[190:191]
	s_delay_alu instid0(VALU_DEP_1) | instskip(SKIP_1) | instid1(VALU_DEP_2)
	v_add_f64_e32 v[55:56], v[118:119], v[55:56]
	v_fma_f64 v[118:119], v[78:79], s[12:13], v[192:193]
	v_add_f64_e32 v[120:121], v[120:121], v[55:56]
	s_delay_alu instid0(VALU_DEP_2) | instskip(SKIP_2) | instid1(VALU_DEP_2)
	v_add_f64_e32 v[118:119], v[118:119], v[53:54]
	v_fma_f64 v[53:54], v[138:139], s[14:15], v[148:149]
	v_fma_f64 v[55:56], v[140:141], s[14:15], -v[150:151]
	v_add_f64_e32 v[53:54], v[53:54], v[124:125]
	s_delay_alu instid0(VALU_DEP_2)
	v_add_f64_e32 v[55:56], v[55:56], v[142:143]
	v_fma_f64 v[124:125], v[80:81], s[30:31], -v[174:175]
	v_fma_f64 v[142:143], v[126:127], s[18:19], -v[132:133]
	v_fma_f64 v[126:127], v[126:127], s[18:19], v[132:133]
	v_add_f64_e32 v[53:54], v[122:123], v[53:54]
	v_fma_f64 v[122:123], v[128:129], s[2:3], -v[162:163]
	s_delay_alu instid0(VALU_DEP_1) | instskip(SKIP_1) | instid1(VALU_DEP_1)
	v_add_f64_e32 v[55:56], v[122:123], v[55:56]
	v_fma_f64 v[122:123], v[73:74], s[12:13], v[164:165]
	v_add_f64_e32 v[53:54], v[122:123], v[53:54]
	v_fma_f64 v[122:123], v[75:76], s[12:13], -v[166:167]
	v_fma_f64 v[75:76], v[75:76], s[14:15], -v[144:145]
	s_delay_alu instid0(VALU_DEP_2) | instskip(SKIP_1) | instid1(VALU_DEP_1)
	v_add_f64_e32 v[55:56], v[122:123], v[55:56]
	v_fma_f64 v[122:123], v[86:87], s[18:19], v[168:169]
	v_add_f64_e32 v[53:54], v[122:123], v[53:54]
	v_fma_f64 v[122:123], v[88:89], s[18:19], -v[170:171]
	s_delay_alu instid0(VALU_DEP_1) | instskip(SKIP_1) | instid1(VALU_DEP_2)
	v_add_f64_e32 v[55:56], v[122:123], v[55:56]
	v_fma_f64 v[122:123], v[78:79], s[30:31], v[172:173]
	v_add_f64_e32 v[124:125], v[124:125], v[55:56]
	s_delay_alu instid0(VALU_DEP_2) | instskip(SKIP_2) | instid1(VALU_DEP_2)
	v_add_f64_e32 v[122:123], v[122:123], v[53:54]
	v_mul_f64_e32 v[53:54], s[28:29], v[136:137]
	v_fma_f64 v[136:137], v[140:141], s[20:21], v[134:135]
	v_fma_f64 v[55:56], v[138:139], s[20:21], -v[53:54]
	s_delay_alu instid0(VALU_DEP_2) | instskip(SKIP_1) | instid1(VALU_DEP_3)
	v_add_f64_e32 v[136:137], v[136:137], v[154:155]
	v_fma_f64 v[53:54], v[138:139], s[20:21], v[53:54]
	v_add_f64_e32 v[55:56], v[55:56], v[152:153]
	s_delay_alu instid0(VALU_DEP_2) | instskip(NEXT) | instid1(VALU_DEP_2)
	v_add_f64_e32 v[53:54], v[53:54], v[156:157]
	v_add_f64_e32 v[55:56], v[142:143], v[55:56]
	v_fma_f64 v[142:143], v[128:129], s[18:19], v[130:131]
	v_fma_f64 v[128:129], v[128:129], s[18:19], -v[130:131]
	s_delay_alu instid0(VALU_DEP_4) | instskip(NEXT) | instid1(VALU_DEP_3)
	v_add_f64_e32 v[53:54], v[126:127], v[53:54]
	v_add_f64_e32 v[136:137], v[142:143], v[136:137]
	v_mul_f64_e32 v[142:143], s[24:25], v[71:72]
	s_delay_alu instid0(VALU_DEP_2) | instskip(NEXT) | instid1(VALU_DEP_2)
	v_add_f64_e32 v[69:70], v[69:70], v[136:137]
	v_fma_f64 v[71:72], v[73:74], s[14:15], -v[142:143]
	v_fma_f64 v[73:74], v[73:74], s[14:15], v[142:143]
	s_delay_alu instid0(VALU_DEP_2) | instskip(SKIP_2) | instid1(VALU_DEP_4)
	v_add_f64_e32 v[55:56], v[71:72], v[55:56]
	v_fma_f64 v[71:72], v[86:87], s[12:13], -v[92:93]
	v_fma_f64 v[86:87], v[86:87], s[12:13], v[92:93]
	v_add_f64_e32 v[53:54], v[73:74], v[53:54]
	v_fma_f64 v[73:74], v[78:79], s[2:3], v[84:85]
	s_delay_alu instid0(VALU_DEP_4) | instskip(SKIP_3) | instid1(VALU_DEP_3)
	v_add_f64_e32 v[55:56], v[71:72], v[55:56]
	v_fma_f64 v[71:72], v[88:89], s[12:13], v[90:91]
	v_fma_f64 v[88:89], v[88:89], s[12:13], -v[90:91]
	v_add_f64_e32 v[53:54], v[86:87], v[53:54]
	v_add_f64_e32 v[71:72], v[71:72], v[69:70]
	v_fma_f64 v[69:70], v[78:79], s[2:3], -v[84:85]
	s_delay_alu instid0(VALU_DEP_3) | instskip(NEXT) | instid1(VALU_DEP_2)
	v_add_f64_e32 v[53:54], v[73:74], v[53:54]
	v_add_f64_e32 v[69:70], v[69:70], v[55:56]
	v_fma_f64 v[55:56], v[80:81], s[2:3], v[82:83]
	s_delay_alu instid0(VALU_DEP_1)
	v_add_f64_e32 v[71:72], v[55:56], v[71:72]
	v_fma_f64 v[55:56], v[140:141], s[20:21], -v[134:135]
	ds_store_b128 v230, v[61:64] offset:32
	ds_store_b128 v230, v[65:68] offset:48
	;; [unrolled: 1-line block ×11, first 2 shown]
	ds_store_b128 v230, v[57:60]
                                        ; implicit-def: $vgpr133_vgpr134
	v_add_f64_e32 v[55:56], v[55:56], v[158:159]
	s_delay_alu instid0(VALU_DEP_1) | instskip(NEXT) | instid1(VALU_DEP_1)
	v_add_f64_e32 v[55:56], v[128:129], v[55:56]
	v_add_f64_e32 v[55:56], v[75:76], v[55:56]
	v_fma_f64 v[75:76], v[80:81], s[2:3], -v[82:83]
	s_load_b64 s[2:3], s[0:1], 0x38
	s_delay_alu instid0(VALU_DEP_2) | instskip(NEXT) | instid1(VALU_DEP_1)
	v_add_f64_e32 v[55:56], v[88:89], v[55:56]
	v_add_f64_e32 v[55:56], v[75:76], v[55:56]
	v_or_b32_e32 v76, 0xc0, v204
	s_delay_alu instid0(VALU_DEP_1)
	v_cmp_gt_u64_e32 vcc_lo, 0xd0, v[76:77]
	ds_store_b128 v230, v[53:56] offset:192
	global_wb scope:SCOPE_SE
	s_wait_dscnt 0x0
	s_wait_kmcnt 0x0
	s_barrier_signal -1
	s_barrier_wait -1
	global_inv scope:SCOPE_SE
	ds_load_b128 v[105:108], v239
	ds_load_b128 v[89:92], v0 offset:512
	ds_load_b128 v[113:116], v0 offset:3328
	;; [unrolled: 1-line block ×11, first 2 shown]
	s_and_saveexec_b32 s0, vcc_lo
	s_cbranch_execz .LBB0_3
; %bb.2:
	ds_load_b128 v[53:56], v0 offset:3072
	ds_load_b128 v[133:136], v0 offset:6400
.LBB0_3:
	s_wait_alu 0xfffe
	s_or_b32 exec_lo, exec_lo, s0
	v_or_b32_e32 v1, 32, v204
	v_mul_lo_u16 v2, v204, 20
	v_or_b32_e32 v3, 64, v204
	v_or_b32_e32 v4, 0x60, v204
	;; [unrolled: 1-line block ×3, first 2 shown]
	v_mul_lo_u16 v6, v1, 20
	v_or_b32_e32 v7, 0xa0, v204
	v_lshrrev_b16 v2, 8, v2
	v_mul_lo_u16 v9, 0x4f, v3
	v_mul_lo_u16 v10, 0x4f, v4
	v_lshrrev_b16 v6, 8, v6
	v_mul_lo_u16 v11, 0x4f, v5
	v_mul_lo_u16 v12, 0x4f, v7
	;; [unrolled: 1-line block ×3, first 2 shown]
	v_lshrrev_b16 v9, 10, v9
	v_lshrrev_b16 v10, 10, v10
	v_mul_lo_u16 v8, 0x4f, v76
	v_mul_lo_u16 v14, v6, 13
	v_lshrrev_b16 v11, 10, v11
	v_sub_nc_u16 v13, v204, v13
	v_lshrrev_b16 v12, 10, v12
	v_mul_lo_u16 v57, v9, 13
	v_mul_lo_u16 v58, v10, 13
	v_lshrrev_b16 v8, 10, v8
	v_sub_nc_u16 v1, v1, v14
	v_mul_lo_u16 v65, v11, 13
	v_and_b32_e32 v15, 0xff, v13
	v_mul_lo_u16 v66, v12, 13
	v_sub_nc_u16 v3, v3, v57
	v_sub_nc_u16 v4, v4, v58
	v_mul_lo_u16 v14, v8, 13
	v_and_b32_e32 v16, 0xff, v1
	v_sub_nc_u16 v5, v5, v65
	v_lshlrev_b32_e32 v15, 4, v15
	v_and_b32_e32 v3, 0xff, v3
	v_sub_nc_u16 v7, v7, v66
	v_and_b32_e32 v4, 0xff, v4
	v_lshlrev_b32_e32 v16, 4, v16
	v_sub_nc_u16 v14, v76, v14
	v_and_b32_e32 v5, 0xff, v5
	s_clause 0x1
	global_load_b128 v[61:64], v15, s[10:11]
	global_load_b128 v[57:60], v16, s[10:11]
	v_lshlrev_b32_e32 v15, 4, v3
	v_and_b32_e32 v7, 0xff, v7
	v_lshlrev_b32_e32 v16, 4, v4
	v_and_b32_e32 v65, 0xff, v14
	v_lshlrev_b32_e32 v14, 4, v5
	global_load_b128 v[73:76], v15, s[10:11]
	v_and_b32_e32 v8, 0xffff, v8
	global_load_b128 v[77:80], v16, s[10:11]
	v_lshlrev_b32_e32 v15, 4, v7
	v_lshlrev_b32_e32 v16, 4, v65
	scratch_store_b32 off, v65, off offset:68 ; 4-byte Folded Spill
	s_clause 0x2
	global_load_b128 v[81:84], v14, s[10:11]
	global_load_b128 v[69:72], v15, s[10:11]
	;; [unrolled: 1-line block ×3, first 2 shown]
	scratch_store_b32 off, v8, off offset:72 ; 4-byte Folded Spill
	v_mul_lo_u16 v8, v9, 26
	v_mad_u16 v2, v2, 26, v13
	v_and_b32_e32 v9, 0xffff, v10
	v_and_b32_e32 v10, 0xffff, v11
	;; [unrolled: 1-line block ×5, first 2 shown]
	v_mad_u16 v1, v6, 26, v1
	v_mul_u32_u24_e32 v6, 26, v9
	v_mul_u32_u24_e32 v9, 26, v10
	v_mul_u32_u24_e32 v10, 26, v11
	v_add_lshl_u32 v11, v240, v2, 4
	v_and_b32_e32 v1, 0xff, v1
	v_add_nc_u32_e32 v2, v8, v3
	v_add_nc_u32_e32 v3, v6, v4
	;; [unrolled: 1-line block ×4, first 2 shown]
	v_add_lshl_u32 v7, v240, v1, 4
	v_add_lshl_u32 v6, v240, v2, 4
	;; [unrolled: 1-line block ×5, first 2 shown]
	global_wb scope:SCOPE_SE
	s_wait_storecnt 0x0
	s_wait_loadcnt_dscnt 0x0
	s_barrier_signal -1
	s_barrier_wait -1
	global_inv scope:SCOPE_SE
	scratch_store_b32 off, v11, off offset:92 ; 4-byte Folded Spill
	v_mul_f64_e32 v[137:138], v[115:116], v[63:64]
	v_mul_f64_e32 v[139:140], v[113:114], v[63:64]
	;; [unrolled: 1-line block ×14, first 2 shown]
	v_fma_f64 v[113:114], v[113:114], v[61:62], -v[137:138]
	v_fma_f64 v[115:116], v[115:116], v[61:62], v[139:140]
	v_fma_f64 v[137:138], v[85:86], v[57:58], -v[141:142]
	v_fma_f64 v[139:140], v[87:88], v[57:58], v[143:144]
	;; [unrolled: 2-line block ×7, first 2 shown]
	v_add_f64_e64 v[85:86], v[105:106], -v[113:114]
	v_add_f64_e64 v[87:88], v[107:108], -v[115:116]
	;; [unrolled: 1-line block ×14, first 2 shown]
	v_fma_f64 v[141:142], v[105:106], 2.0, -v[85:86]
	v_fma_f64 v[143:144], v[107:108], 2.0, -v[87:88]
	;; [unrolled: 1-line block ×14, first 2 shown]
	ds_store_b128 v11, v[141:144]
	ds_store_b128 v11, v[85:88] offset:208
	ds_store_b128 v7, v[89:92]
	scratch_store_b32 off, v7, off offset:96 ; 4-byte Folded Spill
	ds_store_b128 v7, v[97:100] offset:208
	ds_store_b128 v6, v[105:108]
	scratch_store_b32 off, v6, off offset:88 ; 4-byte Folded Spill
	;; [unrolled: 3-line block ×5, first 2 shown]
	ds_store_b128 v1, v[145:148] offset:208
	s_and_saveexec_b32 s0, vcc_lo
	s_cbranch_execz .LBB0_5
; %bb.4:
	s_clause 0x1
	scratch_load_b32 v1, off, off offset:72
	scratch_load_b32 v2, off, off offset:68
	s_wait_loadcnt 0x1
	v_mul_u32_u24_e32 v1, 26, v1
	s_wait_loadcnt 0x0
	s_delay_alu instid0(VALU_DEP_1) | instskip(NEXT) | instid1(VALU_DEP_1)
	v_add_nc_u32_e32 v1, v1, v2
	v_add_lshl_u32 v1, v240, v1, 4
	ds_store_b128 v1, v[129:132]
	ds_store_b128 v1, v[149:152] offset:208
.LBB0_5:
	s_wait_alu 0xfffe
	s_or_b32 exec_lo, exec_lo, s0
	v_add_co_u32 v161, s0, s8, v232
	s_wait_alu 0xf1ff
	v_add_co_ci_u32_e64 v162, null, s9, 0, s0
	v_cmp_gt_u32_e64 s0, 26, v204
	global_wb scope:SCOPE_SE
	s_wait_storecnt_dscnt 0x0
	s_barrier_signal -1
	s_barrier_wait -1
	global_inv scope:SCOPE_SE
                                        ; implicit-def: $vgpr153_vgpr154
                                        ; implicit-def: $vgpr157_vgpr158
	s_and_saveexec_b32 s1, s0
	s_cbranch_execz .LBB0_7
; %bb.6:
	ds_load_b128 v[141:144], v239
	ds_load_b128 v[85:88], v0 offset:416
	ds_load_b128 v[89:92], v0 offset:832
	;; [unrolled: 1-line block ×15, first 2 shown]
.LBB0_7:
	s_wait_alu 0xfffe
	s_or_b32 exec_lo, exec_lo, s1
	v_subrev_nc_u32_e32 v1, 26, v204
	scratch_store_b32 off, v204, off offset:64 ; 4-byte Folded Spill
	s_mov_b32 s13, 0x3fe6a09e
	s_mov_b32 s16, 0xa6aea964
	s_mov_b32 s17, 0x3fd87de2
	v_cndmask_b32_e64 v1, v1, v204, s0
	s_mov_b32 s14, 0xcf328d46
	s_mov_b32 s15, 0xbfed906b
	;; [unrolled: 1-line block ×3, first 2 shown]
	s_wait_alu 0xfffe
	s_mov_b32 s18, s14
	v_mul_i32_i24_e32 v2, 0xf0, v1
	v_mul_hi_i32_i24_e32 v1, 0xf0, v1
	s_mov_b32 s21, 0xbfd87de2
	s_mov_b32 s20, s16
	s_delay_alu instid0(VALU_DEP_2)
	v_add_co_u32 v163, s1, s10, v2
	s_wait_alu 0xf1ff
	v_add_co_ci_u32_e64 v164, s1, s11, v1, s1
	s_mov_b32 s10, 0x667f3bcd
	s_mov_b32 s11, 0xbfe6a09e
	s_wait_alu 0xfffe
	s_mov_b32 s12, s10
	s_clause 0x1
	global_load_b128 v[53:56], v[163:164], off offset:208
	global_load_b128 v[93:96], v[163:164], off offset:224
	s_wait_loadcnt_dscnt 0x10e
	v_mul_f64_e32 v[109:110], v[87:88], v[55:56]
	s_delay_alu instid0(VALU_DEP_1) | instskip(SKIP_1) | instid1(VALU_DEP_1)
	v_fma_f64 v[169:170], v[85:86], v[53:54], -v[109:110]
	v_mul_f64_e32 v[85:86], v[85:86], v[55:56]
	v_fma_f64 v[173:174], v[87:88], v[53:54], v[85:86]
	s_wait_loadcnt_dscnt 0xd
	v_mul_f64_e32 v[85:86], v[91:92], v[95:96]
	s_delay_alu instid0(VALU_DEP_1) | instskip(SKIP_1) | instid1(VALU_DEP_1)
	v_fma_f64 v[167:168], v[89:90], v[93:94], -v[85:86]
	v_mul_f64_e32 v[85:86], v[89:90], v[95:96]
	v_fma_f64 v[175:176], v[91:92], v[93:94], v[85:86]
	s_clause 0x1
	global_load_b128 v[89:92], v[163:164], off offset:240
	global_load_b128 v[85:88], v[163:164], off offset:256
	s_wait_loadcnt_dscnt 0x10c
	v_mul_f64_e32 v[109:110], v[99:100], v[91:92]
	s_delay_alu instid0(VALU_DEP_1) | instskip(SKIP_1) | instid1(VALU_DEP_1)
	v_fma_f64 v[179:180], v[97:98], v[89:90], -v[109:110]
	v_mul_f64_e32 v[97:98], v[97:98], v[91:92]
	v_fma_f64 v[181:182], v[99:100], v[89:90], v[97:98]
	s_wait_loadcnt_dscnt 0xb
	v_mul_f64_e32 v[97:98], v[107:108], v[87:88]
	s_delay_alu instid0(VALU_DEP_1) | instskip(SKIP_1) | instid1(VALU_DEP_1)
	v_fma_f64 v[171:172], v[105:106], v[85:86], -v[97:98]
	v_mul_f64_e32 v[97:98], v[105:106], v[87:88]
	v_fma_f64 v[177:178], v[107:108], v[85:86], v[97:98]
	;; [unrolled: 15-line block ×3, first 2 shown]
	s_clause 0x1
	global_load_b128 v[105:108], v[163:164], off offset:304
	global_load_b128 v[101:104], v[163:164], off offset:320
	s_wait_loadcnt_dscnt 0x108
	v_mul_f64_e32 v[117:118], v[115:116], v[107:108]
	s_delay_alu instid0(VALU_DEP_1) | instskip(SKIP_1) | instid1(VALU_DEP_1)
	v_fma_f64 v[193:194], v[113:114], v[105:106], -v[117:118]
	v_mul_f64_e32 v[113:114], v[113:114], v[107:108]
	v_fma_f64 v[195:196], v[115:116], v[105:106], v[113:114]
	s_wait_loadcnt_dscnt 0x7
	v_mul_f64_e32 v[113:114], v[123:124], v[103:104]
	s_delay_alu instid0(VALU_DEP_1) | instskip(SKIP_1) | instid1(VALU_DEP_2)
	v_fma_f64 v[165:166], v[121:122], v[101:102], -v[113:114]
	v_mul_f64_e32 v[113:114], v[121:122], v[103:104]
	v_add_f64_e64 v[214:215], v[141:142], -v[165:166]
	s_delay_alu instid0(VALU_DEP_2) | instskip(SKIP_4) | instid1(VALU_DEP_1)
	v_fma_f64 v[191:192], v[123:124], v[101:102], v[113:114]
	s_clause 0x1
	global_load_b128 v[113:116], v[163:164], off offset:384
	global_load_b128 v[117:120], v[163:164], off offset:368
	v_add_f64_e64 v[216:217], v[143:144], -v[191:192]
	v_fma_f64 v[165:166], v[143:144], 2.0, -v[216:217]
	s_wait_loadcnt_dscnt 0x103
	v_mul_f64_e32 v[121:122], v[131:132], v[115:116]
	s_delay_alu instid0(VALU_DEP_1) | instskip(SKIP_1) | instid1(VALU_DEP_2)
	v_fma_f64 v[197:198], v[129:130], v[113:114], -v[121:122]
	v_mul_f64_e32 v[121:122], v[129:130], v[115:116]
	v_add_f64_e64 v[197:198], v[171:172], -v[197:198]
	s_delay_alu instid0(VALU_DEP_2)
	v_fma_f64 v[199:200], v[131:132], v[113:114], v[121:122]
	s_clause 0x1
	global_load_b128 v[129:132], v[163:164], off offset:352
	global_load_b128 v[121:124], v[163:164], off offset:336
	v_fma_f64 v[218:219], v[171:172], 2.0, -v[197:198]
	v_add_f64_e32 v[171:172], v[216:217], v[197:198]
	s_wait_loadcnt 0x1
	v_mul_f64_e32 v[133:134], v[127:128], v[131:132]
	s_delay_alu instid0(VALU_DEP_1) | instskip(SKIP_1) | instid1(VALU_DEP_2)
	v_fma_f64 v[201:202], v[125:126], v[129:130], -v[133:134]
	v_mul_f64_e32 v[125:126], v[125:126], v[131:132]
	v_add_f64_e64 v[191:192], v[167:168], -v[201:202]
	s_delay_alu instid0(VALU_DEP_2)
	v_fma_f64 v[203:204], v[127:128], v[129:130], v[125:126]
	s_clause 0x1
	global_load_b128 v[133:136], v[163:164], off offset:416
	global_load_b128 v[125:128], v[163:164], off offset:400
	s_wait_loadcnt_dscnt 0x101
	v_mul_f64_e32 v[206:207], v[159:160], v[135:136]
	s_delay_alu instid0(VALU_DEP_1) | instskip(SKIP_1) | instid1(VALU_DEP_2)
	v_fma_f64 v[206:207], v[157:158], v[133:134], -v[206:207]
	v_mul_f64_e32 v[157:158], v[157:158], v[135:136]
	v_add_f64_e64 v[143:144], v[187:188], -v[206:207]
	s_delay_alu instid0(VALU_DEP_2) | instskip(SKIP_1) | instid1(VALU_DEP_2)
	v_fma_f64 v[157:158], v[159:160], v[133:134], v[157:158]
	v_mul_f64_e32 v[159:160], v[139:140], v[123:124]
	v_add_f64_e64 v[157:158], v[189:190], -v[157:158]
	s_delay_alu instid0(VALU_DEP_2) | instskip(SKIP_3) | instid1(VALU_DEP_3)
	v_fma_f64 v[208:209], v[137:138], v[121:122], -v[159:160]
	v_mul_f64_e32 v[137:138], v[137:138], v[123:124]
	v_fma_f64 v[159:160], v[141:142], 2.0, -v[214:215]
	v_add_f64_e64 v[141:142], v[177:178], -v[199:200]
	v_fma_f64 v[210:211], v[139:140], v[121:122], v[137:138]
	s_wait_loadcnt 0x0
	v_mul_f64_e32 v[137:138], v[151:152], v[127:128]
	s_delay_alu instid0(VALU_DEP_3) | instskip(NEXT) | instid1(VALU_DEP_2)
	v_fma_f64 v[201:202], v[177:178], 2.0, -v[141:142]
	v_fma_f64 v[212:213], v[149:150], v[125:126], -v[137:138]
	v_mul_f64_e32 v[137:138], v[149:150], v[127:128]
	s_delay_alu instid0(VALU_DEP_3) | instskip(NEXT) | instid1(VALU_DEP_2)
	v_add_f64_e64 v[201:202], v[165:166], -v[201:202]
	v_fma_f64 v[149:150], v[151:152], v[125:126], v[137:138]
	v_mul_f64_e32 v[137:138], v[147:148], v[119:120]
	s_delay_alu instid0(VALU_DEP_1) | instskip(SKIP_1) | instid1(VALU_DEP_2)
	v_fma_f64 v[151:152], v[145:146], v[117:118], -v[137:138]
	v_mul_f64_e32 v[137:138], v[145:146], v[119:120]
	v_add_f64_e64 v[151:152], v[179:180], -v[151:152]
	s_delay_alu instid0(VALU_DEP_2) | instskip(SKIP_2) | instid1(VALU_DEP_1)
	v_fma_f64 v[145:146], v[147:148], v[117:118], v[137:138]
	global_load_b128 v[137:140], v[163:164], off offset:432
	v_add_f64_e64 v[145:146], v[181:182], -v[145:146]
	v_fma_f64 v[199:200], v[181:182], 2.0, -v[145:146]
	v_fma_f64 v[181:182], v[216:217], 2.0, -v[171:172]
	s_wait_loadcnt_dscnt 0x0
	v_mul_f64_e32 v[147:148], v[153:154], v[139:140]
	s_delay_alu instid0(VALU_DEP_1) | instskip(SKIP_1) | instid1(VALU_DEP_2)
	v_fma_f64 v[147:148], v[155:156], v[137:138], v[147:148]
	v_mul_f64_e32 v[155:156], v[155:156], v[139:140]
	v_add_f64_e64 v[147:148], v[195:196], -v[147:148]
	s_delay_alu instid0(VALU_DEP_2)
	v_fma_f64 v[163:164], v[153:154], v[137:138], -v[155:156]
	v_add_f64_e64 v[155:156], v[175:176], -v[203:204]
	v_add_f64_e64 v[153:154], v[214:215], -v[141:142]
	v_fma_f64 v[141:142], v[187:188], 2.0, -v[143:144]
	v_fma_f64 v[203:204], v[189:190], 2.0, -v[157:158]
	v_add_f64_e64 v[157:158], v[191:192], -v[157:158]
	v_fma_f64 v[189:190], v[167:168], 2.0, -v[191:192]
	v_fma_f64 v[222:223], v[195:196], 2.0, -v[147:148]
	v_add_f64_e64 v[163:164], v[193:194], -v[163:164]
	v_add_f64_e32 v[143:144], v[155:156], v[143:144]
	v_fma_f64 v[177:178], v[175:176], 2.0, -v[155:156]
	v_add_f64_e64 v[175:176], v[183:184], -v[212:213]
	v_add_f64_e64 v[147:148], v[151:152], -v[147:148]
	v_fma_f64 v[167:168], v[191:192], 2.0, -v[157:158]
	v_fma_f64 v[187:188], v[155:156], 2.0, -v[143:144]
	s_wait_alu 0xfffe
	v_fma_f64 v[155:156], v[157:158], s[12:13], v[153:154]
	v_fma_f64 v[224:225], v[183:184], 2.0, -v[175:176]
	v_add_f64_e64 v[226:227], v[177:178], -v[203:204]
	s_delay_alu instid0(VALU_DEP_3) | instskip(SKIP_1) | instid1(VALU_DEP_1)
	v_fma_f64 v[155:156], v[143:144], s[10:11], v[155:156]
	v_fma_f64 v[143:144], v[143:144], s[12:13], v[171:172]
	;; [unrolled: 1-line block ×3, first 2 shown]
	v_add_f64_e64 v[143:144], v[185:186], -v[149:150]
	v_add_f64_e64 v[149:150], v[169:170], -v[208:209]
	;; [unrolled: 1-line block ×3, first 2 shown]
	v_fma_f64 v[210:211], v[179:180], 2.0, -v[151:152]
	v_fma_f64 v[151:152], v[151:152], 2.0, -v[147:148]
	v_add_f64_e64 v[179:180], v[159:160], -v[218:219]
	v_add_f64_e64 v[218:219], v[189:190], -v[141:142]
	v_fma_f64 v[212:213], v[185:186], 2.0, -v[143:144]
	v_add_f64_e64 v[191:192], v[149:150], -v[143:144]
	v_fma_f64 v[143:144], v[193:194], 2.0, -v[163:164]
	v_add_f64_e32 v[163:164], v[145:146], v[163:164]
	v_add_f64_e32 v[195:196], v[208:209], v[175:176]
	v_fma_f64 v[220:221], v[169:170], 2.0, -v[149:150]
	v_fma_f64 v[216:217], v[173:174], 2.0, -v[208:209]
	v_add_f64_e64 v[169:170], v[179:180], -v[226:227]
	v_add_f64_e32 v[173:174], v[201:202], v[218:219]
	v_fma_f64 v[175:176], v[147:148], s[12:13], v[191:192]
	v_fma_f64 v[183:184], v[149:150], 2.0, -v[191:192]
	v_fma_f64 v[145:146], v[145:146], 2.0, -v[163:164]
	;; [unrolled: 1-line block ×3, first 2 shown]
	v_add_f64_e64 v[203:204], v[220:221], -v[224:225]
	v_add_f64_e64 v[208:209], v[216:217], -v[212:213]
	;; [unrolled: 1-line block ×4, first 2 shown]
	v_fma_f64 v[197:198], v[163:164], s[10:11], v[175:176]
	v_fma_f64 v[163:164], v[163:164], s[12:13], v[195:196]
	v_fma_f64 v[175:176], v[214:215], 2.0, -v[153:154]
	v_add_f64_e64 v[212:213], v[203:204], -v[224:225]
	v_add_f64_e32 v[214:215], v[208:209], v[222:223]
	s_delay_alu instid0(VALU_DEP_4) | instskip(NEXT) | instid1(VALU_DEP_4)
	v_fma_f64 v[206:207], v[147:148], s[12:13], v[163:164]
	v_fma_f64 v[147:148], v[167:168], s[10:11], v[175:176]
	s_delay_alu instid0(VALU_DEP_4) | instskip(NEXT) | instid1(VALU_DEP_4)
	v_fma_f64 v[141:142], v[212:213], s[12:13], v[169:170]
	v_fma_f64 v[143:144], v[214:215], s[12:13], v[173:174]
	s_delay_alu instid0(VALU_DEP_3) | instskip(SKIP_1) | instid1(VALU_DEP_4)
	v_fma_f64 v[163:164], v[187:188], s[10:11], v[147:148]
	v_fma_f64 v[147:148], v[187:188], s[10:11], v[181:182]
	;; [unrolled: 1-line block ×3, first 2 shown]
	s_delay_alu instid0(VALU_DEP_4) | instskip(NEXT) | instid1(VALU_DEP_3)
	v_fma_f64 v[143:144], v[212:213], s[12:13], v[143:144]
	v_fma_f64 v[167:168], v[167:168], s[12:13], v[147:148]
	;; [unrolled: 1-line block ×3, first 2 shown]
	s_delay_alu instid0(VALU_DEP_1) | instskip(SKIP_1) | instid1(VALU_DEP_1)
	v_fma_f64 v[187:188], v[145:146], s[10:11], v[147:148]
	v_fma_f64 v[145:146], v[145:146], s[10:11], v[185:186]
	;; [unrolled: 1-line block ×3, first 2 shown]
	s_delay_alu instid0(VALU_DEP_3) | instskip(NEXT) | instid1(VALU_DEP_2)
	v_fma_f64 v[145:146], v[187:188], s[16:17], v[163:164]
	v_fma_f64 v[147:148], v[193:194], s[16:17], v[167:168]
	s_delay_alu instid0(VALU_DEP_2) | instskip(SKIP_1) | instid1(VALU_DEP_3)
	v_fma_f64 v[149:150], v[193:194], s[14:15], v[145:146]
	v_fma_f64 v[145:146], v[197:198], s[18:19], v[155:156]
	;; [unrolled: 1-line block ×4, first 2 shown]
	s_delay_alu instid0(VALU_DEP_3) | instskip(NEXT) | instid1(VALU_DEP_2)
	v_fma_f64 v[145:146], v[206:207], s[20:21], v[145:146]
	v_fma_f64 v[147:148], v[197:198], s[16:17], v[147:148]
	s_and_saveexec_b32 s1, s0
	s_cbranch_execz .LBB0_9
; %bb.8:
	v_fma_f64 v[165:166], v[165:166], 2.0, -v[201:202]
	v_fma_f64 v[177:178], v[177:178], 2.0, -v[226:227]
	;; [unrolled: 1-line block ×21, first 2 shown]
	v_add_f64_e64 v[212:213], v[165:166], -v[177:178]
	v_add_f64_e64 v[199:200], v[216:217], -v[199:200]
	;; [unrolled: 1-line block ×4, first 2 shown]
	v_fma_f64 v[210:211], v[175:176], 2.0, -v[163:164]
	v_fma_f64 v[175:176], v[195:196], s[20:21], v[171:172]
	v_fma_f64 v[179:180], v[197:198], s[10:11], v[206:207]
	;; [unrolled: 1-line block ×5, first 2 shown]
	v_fma_f64 v[214:215], v[165:166], 2.0, -v[212:213]
	v_fma_f64 v[165:166], v[216:217], 2.0, -v[199:200]
	;; [unrolled: 1-line block ×4, first 2 shown]
	v_fma_f64 v[220:221], v[183:184], s[14:15], v[210:211]
	v_fma_f64 v[181:182], v[191:192], s[18:19], v[175:176]
	v_add_f64_e32 v[177:178], v[212:213], v[177:178]
	v_add_f64_e64 v[175:176], v[218:219], -v[199:200]
	v_fma_f64 v[185:186], v[201:202], s[12:13], v[179:180]
	v_fma_f64 v[189:190], v[183:184], s[16:17], v[187:188]
	;; [unrolled: 1-line block ×4, first 2 shown]
	v_add_f64_e64 v[193:194], v[214:215], -v[165:166]
	v_fma_f64 v[165:166], v[173:174], 2.0, -v[143:144]
	v_add_f64_e64 v[191:192], v[159:160], -v[216:217]
	v_fma_f64 v[187:188], v[208:209], s[20:21], v[220:221]
	v_fma_f64 v[201:202], v[171:172], 2.0, -v[181:182]
	v_fma_f64 v[197:198], v[212:213], 2.0, -v[177:178]
	;; [unrolled: 1-line block ×13, first 2 shown]
	ds_store_b128 v239, v[214:217]
	ds_store_b128 v0, v[210:213] offset:416
	ds_store_b128 v0, v[206:209] offset:832
	;; [unrolled: 1-line block ×15, first 2 shown]
.LBB0_9:
	s_wait_alu 0xfffe
	s_or_b32 exec_lo, exec_lo, s1
	global_wb scope:SCOPE_SE
	s_wait_storecnt_dscnt 0x0
	s_barrier_signal -1
	s_barrier_wait -1
	global_inv scope:SCOPE_SE
	global_load_b128 v[153:156], v[161:162], off offset:6656
	s_add_nc_u64 s[8:9], s[8:9], 0x1a00
	s_clause 0x4
	global_load_b128 v[157:160], v232, s[8:9] offset:512
	global_load_b128 v[161:164], v232, s[8:9] offset:1024
	;; [unrolled: 1-line block ×5, first 2 shown]
	ds_load_b128 v[177:180], v239
	global_load_b128 v[181:184], v232, s[8:9] offset:3072
	v_lshlrev_b32_e32 v1, 4, v240
	s_mov_b32 s44, 0x4267c47c
	s_mov_b32 s34, 0x42a4c3d2
	;; [unrolled: 1-line block ×25, first 2 shown]
	s_wait_alu 0xfffe
	s_mov_b32 s38, s34
	s_mov_b32 s31, 0x3fedeba7
	;; [unrolled: 1-line block ×8, first 2 shown]
	s_wait_loadcnt_dscnt 0x600
	v_mul_f64_e32 v[185:186], v[179:180], v[155:156]
	v_mul_f64_e32 v[155:156], v[177:178], v[155:156]
	s_delay_alu instid0(VALU_DEP_2) | instskip(NEXT) | instid1(VALU_DEP_2)
	v_fma_f64 v[177:178], v[177:178], v[153:154], -v[185:186]
	v_fma_f64 v[179:180], v[179:180], v[153:154], v[155:156]
	ds_store_b128 v239, v[177:180]
	ds_load_b128 v[153:156], v0 offset:512
	ds_load_b128 v[177:180], v0 offset:1024
	scratch_store_b32 off, v1, off offset:104 ; 4-byte Folded Spill
	v_add_nc_u32_e32 v1, v1, v232
	s_wait_loadcnt_dscnt 0x501
	v_mul_f64_e32 v[185:186], v[155:156], v[159:160]
	v_mul_f64_e32 v[159:160], v[153:154], v[159:160]
	s_delay_alu instid0(VALU_DEP_2) | instskip(SKIP_3) | instid1(VALU_DEP_4)
	v_fma_f64 v[153:154], v[153:154], v[157:158], -v[185:186]
	s_wait_loadcnt_dscnt 0x400
	v_mul_f64_e32 v[185:186], v[179:180], v[163:164]
	v_mul_f64_e32 v[163:164], v[177:178], v[163:164]
	v_fma_f64 v[155:156], v[155:156], v[157:158], v[159:160]
	ds_load_b128 v[157:160], v0 offset:1536
	v_fma_f64 v[177:178], v[177:178], v[161:162], -v[185:186]
	v_fma_f64 v[179:180], v[179:180], v[161:162], v[163:164]
	ds_load_b128 v[161:164], v0 offset:2048
	s_wait_loadcnt_dscnt 0x301
	v_mul_f64_e32 v[185:186], v[159:160], v[167:168]
	v_mul_f64_e32 v[167:168], v[157:158], v[167:168]
	s_delay_alu instid0(VALU_DEP_2) | instskip(SKIP_3) | instid1(VALU_DEP_4)
	v_fma_f64 v[157:158], v[157:158], v[165:166], -v[185:186]
	s_wait_loadcnt_dscnt 0x200
	v_mul_f64_e32 v[185:186], v[163:164], v[171:172]
	v_mul_f64_e32 v[171:172], v[161:162], v[171:172]
	v_fma_f64 v[159:160], v[159:160], v[165:166], v[167:168]
	ds_load_b128 v[165:168], v0 offset:2560
	v_fma_f64 v[161:162], v[161:162], v[169:170], -v[185:186]
	v_fma_f64 v[163:164], v[163:164], v[169:170], v[171:172]
	ds_load_b128 v[169:172], v0 offset:3584
	s_wait_loadcnt_dscnt 0x101
	v_mul_f64_e32 v[185:186], v[167:168], v[175:176]
	v_mul_f64_e32 v[175:176], v[165:166], v[175:176]
	s_delay_alu instid0(VALU_DEP_2) | instskip(NEXT) | instid1(VALU_DEP_2)
	v_fma_f64 v[165:166], v[165:166], v[173:174], -v[185:186]
	v_fma_f64 v[167:168], v[167:168], v[173:174], v[175:176]
	ds_load_b128 v[173:176], v1 offset:3072
	ds_load_b128 v[185:188], v0 offset:6144
	s_wait_loadcnt_dscnt 0x1
	v_mul_f64_e32 v[189:190], v[175:176], v[183:184]
	v_mul_f64_e32 v[183:184], v[173:174], v[183:184]
	s_delay_alu instid0(VALU_DEP_2) | instskip(NEXT) | instid1(VALU_DEP_2)
	v_fma_f64 v[173:174], v[173:174], v[181:182], -v[189:190]
	v_fma_f64 v[175:176], v[175:176], v[181:182], v[183:184]
	s_clause 0x1
	global_load_b128 v[181:184], v232, s[8:9] offset:3584
	global_load_b128 v[189:192], v232, s[8:9] offset:4096
	s_wait_loadcnt 0x1
	v_mul_f64_e32 v[193:194], v[171:172], v[183:184]
	v_mul_f64_e32 v[183:184], v[169:170], v[183:184]
	s_delay_alu instid0(VALU_DEP_2) | instskip(NEXT) | instid1(VALU_DEP_2)
	v_fma_f64 v[169:170], v[169:170], v[181:182], -v[193:194]
	v_fma_f64 v[171:172], v[171:172], v[181:182], v[183:184]
	ds_load_b128 v[181:184], v0 offset:4096
	ds_load_b128 v[193:196], v0 offset:4608
	s_wait_loadcnt_dscnt 0x1
	v_mul_f64_e32 v[197:198], v[183:184], v[191:192]
	v_mul_f64_e32 v[191:192], v[181:182], v[191:192]
	s_delay_alu instid0(VALU_DEP_2) | instskip(NEXT) | instid1(VALU_DEP_2)
	v_fma_f64 v[181:182], v[181:182], v[189:190], -v[197:198]
	v_fma_f64 v[183:184], v[183:184], v[189:190], v[191:192]
	s_clause 0x1
	global_load_b128 v[189:192], v232, s[8:9] offset:4608
	global_load_b128 v[197:200], v232, s[8:9] offset:5120
	s_wait_loadcnt_dscnt 0x100
	v_mul_f64_e32 v[201:202], v[195:196], v[191:192]
	v_mul_f64_e32 v[203:204], v[193:194], v[191:192]
	s_delay_alu instid0(VALU_DEP_2) | instskip(NEXT) | instid1(VALU_DEP_2)
	v_fma_f64 v[191:192], v[193:194], v[189:190], -v[201:202]
	v_fma_f64 v[193:194], v[195:196], v[189:190], v[203:204]
	ds_load_b128 v[201:204], v0 offset:5120
	ds_load_b128 v[206:209], v0 offset:5632
	s_wait_loadcnt_dscnt 0x1
	v_mul_f64_e32 v[189:190], v[203:204], v[199:200]
	v_mul_f64_e32 v[199:200], v[201:202], v[199:200]
	s_delay_alu instid0(VALU_DEP_2) | instskip(NEXT) | instid1(VALU_DEP_2)
	v_fma_f64 v[195:196], v[201:202], v[197:198], -v[189:190]
	v_fma_f64 v[197:198], v[203:204], v[197:198], v[199:200]
	s_clause 0x1
	global_load_b128 v[199:202], v232, s[8:9] offset:5632
	global_load_b128 v[210:213], v232, s[8:9] offset:6144
	s_mov_b32 s8, 0x93053d00
	s_mov_b32 s9, 0xbfef11f4
	s_wait_loadcnt_dscnt 0x100
	v_mul_f64_e32 v[189:190], v[208:209], v[201:202]
	v_mul_f64_e32 v[203:204], v[206:207], v[201:202]
	s_delay_alu instid0(VALU_DEP_2) | instskip(NEXT) | instid1(VALU_DEP_2)
	v_fma_f64 v[201:202], v[206:207], v[199:200], -v[189:190]
	v_fma_f64 v[203:204], v[208:209], v[199:200], v[203:204]
	s_wait_loadcnt 0x0
	v_mul_f64_e32 v[189:190], v[187:188], v[212:213]
	v_mul_f64_e32 v[199:200], v[185:186], v[212:213]
	ds_store_b128 v0, v[153:156] offset:512
	ds_store_b128 v0, v[177:180] offset:1024
	;; [unrolled: 1-line block ×10, first 2 shown]
	scratch_store_b32 off, v1, off offset:100 ; 4-byte Folded Spill
	v_fma_f64 v[185:186], v[185:186], v[210:211], -v[189:190]
	v_fma_f64 v[187:188], v[187:188], v[210:211], v[199:200]
	ds_store_b128 v1, v[173:176] offset:3072
	ds_store_b128 v0, v[185:188] offset:6144
	global_wb scope:SCOPE_SE
	s_wait_storecnt_dscnt 0x0
	s_barrier_signal -1
	s_barrier_wait -1
	global_inv scope:SCOPE_SE
	ds_load_b128 v[153:156], v239
	ds_load_b128 v[157:160], v0 offset:512
	ds_load_b128 v[161:164], v0 offset:1024
	;; [unrolled: 1-line block ×3, first 2 shown]
	s_wait_dscnt 0x2
	v_add_f64_e32 v[169:170], v[153:154], v[157:158]
	v_add_f64_e32 v[171:172], v[155:156], v[159:160]
	s_wait_dscnt 0x1
	s_delay_alu instid0(VALU_DEP_2) | instskip(NEXT) | instid1(VALU_DEP_2)
	v_add_f64_e32 v[169:170], v[169:170], v[161:162]
	v_add_f64_e32 v[171:172], v[171:172], v[163:164]
	s_wait_dscnt 0x0
	s_delay_alu instid0(VALU_DEP_2) | instskip(NEXT) | instid1(VALU_DEP_2)
	v_add_f64_e32 v[177:178], v[169:170], v[165:166]
	v_add_f64_e32 v[179:180], v[171:172], v[167:168]
	ds_load_b128 v[169:172], v0 offset:2048
	ds_load_b128 v[173:176], v0 offset:2560
	s_wait_dscnt 0x1
	v_add_f64_e32 v[177:178], v[177:178], v[169:170]
	v_add_f64_e32 v[179:180], v[179:180], v[171:172]
	s_wait_dscnt 0x0
	s_delay_alu instid0(VALU_DEP_2) | instskip(NEXT) | instid1(VALU_DEP_2)
	v_add_f64_e32 v[181:182], v[177:178], v[173:174]
	v_add_f64_e32 v[183:184], v[179:180], v[175:176]
	ds_load_b128 v[177:180], v1 offset:3072
	s_wait_dscnt 0x0
	v_add_f64_e32 v[185:186], v[181:182], v[177:178]
	v_add_f64_e32 v[187:188], v[183:184], v[179:180]
	ds_load_b128 v[181:184], v0 offset:3584
	ds_load_b128 v[195:198], v0 offset:4096
	s_wait_dscnt 0x1
	v_add_f64_e32 v[189:190], v[177:178], v[181:182]
	v_add_f64_e64 v[177:178], v[177:178], -v[181:182]
	v_add_f64_e32 v[191:192], v[179:180], v[183:184]
	v_add_f64_e64 v[193:194], v[179:180], -v[183:184]
	s_wait_dscnt 0x0
	v_add_f64_e32 v[179:180], v[173:174], v[195:196]
	v_add_f64_e64 v[173:174], v[173:174], -v[195:196]
	v_add_f64_e32 v[181:182], v[185:186], v[181:182]
	v_add_f64_e32 v[187:188], v[187:188], v[183:184]
	;; [unrolled: 1-line block ×3, first 2 shown]
	v_add_f64_e64 v[185:186], v[175:176], -v[197:198]
	v_mul_f64_e32 v[13:14], s[42:43], v[193:194]
	v_add_f64_e32 v[206:207], v[181:182], v[195:196]
	v_add_f64_e32 v[187:188], v[187:188], v[197:198]
	ds_load_b128 v[197:200], v0 offset:4608
	ds_load_b128 v[201:204], v0 offset:5120
	v_mul_f64_e32 v[9:10], s[16:17], v[183:184]
	s_wait_dscnt 0x1
	v_add_f64_e32 v[175:176], v[169:170], v[197:198]
	v_add_f64_e64 v[181:182], v[169:170], -v[197:198]
	v_add_f64_e32 v[195:196], v[171:172], v[199:200]
	v_add_f64_e64 v[169:170], v[171:172], -v[199:200]
	s_wait_dscnt 0x0
	v_add_f64_e32 v[171:172], v[167:168], v[203:204]
	v_fma_f64 v[15:16], v[189:190], s[40:41], v[13:14]
	v_fma_f64 v[13:14], v[189:190], s[40:41], -v[13:14]
	v_add_f64_e32 v[197:198], v[206:207], v[197:198]
	v_add_f64_e32 v[206:207], v[187:188], v[199:200]
	;; [unrolled: 1-line block ×3, first 2 shown]
	v_add_f64_e64 v[165:166], v[165:166], -v[201:202]
	v_add_f64_e64 v[199:200], v[167:168], -v[203:204]
	v_fma_f64 v[11:12], v[173:174], s[24:25], v[9:10]
	s_wait_alu 0xfffe
	v_fma_f64 v[9:10], v[173:174], s[36:37], v[9:10]
	v_add_f64_e32 v[214:215], v[197:198], v[201:202]
	v_add_f64_e32 v[216:217], v[206:207], v[203:204]
	ds_load_b128 v[206:209], v0 offset:5632
	ds_load_b128 v[210:213], v0 offset:6144
	s_wait_dscnt 0x1
	v_add_f64_e32 v[167:168], v[161:162], v[206:207]
	v_add_f64_e32 v[201:202], v[163:164], v[208:209]
	v_add_f64_e64 v[197:198], v[161:162], -v[206:207]
	v_add_f64_e64 v[203:204], v[163:164], -v[208:209]
	v_add_f64_e32 v[161:162], v[214:215], v[206:207]
	v_add_f64_e32 v[163:164], v[216:217], v[208:209]
	s_wait_dscnt 0x0
	v_add_f64_e64 v[206:207], v[159:160], -v[212:213]
	v_add_f64_e32 v[208:209], v[157:158], v[210:211]
	v_add_f64_e32 v[214:215], v[159:160], v[212:213]
	v_add_f64_e64 v[216:217], v[157:158], -v[210:211]
	v_add_f64_e32 v[157:158], v[161:162], v[210:211]
	v_add_f64_e32 v[159:160], v[163:164], v[212:213]
	v_mul_f64_e32 v[161:162], s[44:45], v[206:207]
	v_mul_f64_e32 v[163:164], s[34:35], v[206:207]
	;; [unrolled: 1-line block ×7, first 2 shown]
	v_fma_f64 v[220:221], v[208:209], s[40:41], v[161:162]
	v_fma_f64 v[161:162], v[208:209], s[40:41], -v[161:162]
	v_fma_f64 v[224:225], v[208:209], s[20:21], v[163:164]
	v_fma_f64 v[163:164], v[208:209], s[20:21], -v[163:164]
	;; [unrolled: 2-line block ×6, first 2 shown]
	v_mul_f64_e32 v[206:207], s[40:41], v[214:215]
	v_mul_f64_e32 v[208:209], s[20:21], v[214:215]
	;; [unrolled: 1-line block ×5, first 2 shown]
	v_fma_f64 v[5:6], v[216:217], s[28:29], v[248:249]
	v_fma_f64 v[7:8], v[216:217], s[18:19], v[248:249]
	v_add_f64_e32 v[226:227], v[153:154], v[226:227]
	v_add_f64_e32 v[231:232], v[153:154], v[231:232]
	;; [unrolled: 1-line block ×4, first 2 shown]
	v_fma_f64 v[250:251], v[216:217], s[42:43], v[206:207]
	v_fma_f64 v[252:253], v[216:217], s[44:45], v[206:207]
	;; [unrolled: 1-line block ×10, first 2 shown]
	v_add_f64_e32 v[206:207], v[153:154], v[220:221]
	v_add_f64_e32 v[212:213], v[153:154], v[161:162]
	;; [unrolled: 1-line block ×7, first 2 shown]
	v_mul_f64_e32 v[244:245], s[28:29], v[169:170]
	v_mul_f64_e32 v[246:247], s[10:11], v[195:196]
	v_add_f64_e32 v[208:209], v[155:156], v[250:251]
	v_add_f64_e32 v[210:211], v[155:156], v[252:253]
	;; [unrolled: 1-line block ×6, first 2 shown]
	v_mul_f64_e32 v[153:154], s[22:23], v[203:204]
	v_add_f64_e32 v[235:236], v[155:156], v[235:236]
	v_add_f64_e32 v[237:238], v[155:156], v[237:238]
	;; [unrolled: 1-line block ×7, first 2 shown]
	v_mul_f64_e32 v[240:241], s[14:15], v[201:202]
	v_mul_f64_e32 v[242:243], s[8:9], v[171:172]
	;; [unrolled: 1-line block ×3, first 2 shown]
	v_fma_f64 v[155:156], v[167:168], s[14:15], v[153:154]
	s_delay_alu instid0(VALU_DEP_1) | instskip(SKIP_1) | instid1(VALU_DEP_1)
	v_add_f64_e32 v[155:156], v[155:156], v[161:162]
	v_fma_f64 v[161:162], v[197:198], s[30:31], v[240:241]
	v_add_f64_e32 v[161:162], v[161:162], v[224:225]
	v_mul_f64_e32 v[224:225], s[12:13], v[199:200]
	s_delay_alu instid0(VALU_DEP_1) | instskip(NEXT) | instid1(VALU_DEP_1)
	v_fma_f64 v[163:164], v[187:188], s[8:9], v[224:225]
	v_add_f64_e32 v[155:156], v[163:164], v[155:156]
	v_fma_f64 v[163:164], v[165:166], s[26:27], v[242:243]
	s_delay_alu instid0(VALU_DEP_1) | instskip(SKIP_1) | instid1(VALU_DEP_1)
	v_add_f64_e32 v[161:162], v[163:164], v[161:162]
	v_fma_f64 v[163:164], v[175:176], s[10:11], v[244:245]
	v_add_f64_e32 v[155:156], v[163:164], v[155:156]
	v_fma_f64 v[163:164], v[181:182], s[18:19], v[246:247]
	s_delay_alu instid0(VALU_DEP_1) | instskip(SKIP_1) | instid1(VALU_DEP_2)
	v_add_f64_e32 v[161:162], v[163:164], v[161:162]
	v_fma_f64 v[163:164], v[179:180], s[16:17], v[248:249]
	v_add_f64_e32 v[11:12], v[11:12], v[161:162]
	s_delay_alu instid0(VALU_DEP_2) | instskip(NEXT) | instid1(VALU_DEP_1)
	v_add_f64_e32 v[155:156], v[163:164], v[155:156]
	v_add_f64_e32 v[161:162], v[15:16], v[155:156]
	v_mul_f64_e32 v[15:16], s[40:41], v[191:192]
	s_delay_alu instid0(VALU_DEP_1) | instskip(SKIP_1) | instid1(VALU_DEP_2)
	v_fma_f64 v[155:156], v[177:178], s[44:45], v[15:16]
	v_fma_f64 v[15:16], v[177:178], s[42:43], v[15:16]
	v_add_f64_e32 v[163:164], v[155:156], v[11:12]
	v_fma_f64 v[11:12], v[167:168], s[14:15], -v[153:154]
	v_fma_f64 v[153:154], v[197:198], s[22:23], v[240:241]
	v_fma_f64 v[155:156], v[187:188], s[8:9], -v[224:225]
	v_mul_f64_e32 v[240:241], s[42:43], v[169:170]
	s_delay_alu instid0(VALU_DEP_4) | instskip(NEXT) | instid1(VALU_DEP_4)
	v_add_f64_e32 v[11:12], v[11:12], v[250:251]
	v_add_f64_e32 v[153:154], v[153:154], v[235:236]
	v_mul_f64_e32 v[235:236], s[30:31], v[199:200]
	s_delay_alu instid0(VALU_DEP_3) | instskip(SKIP_1) | instid1(VALU_DEP_3)
	v_add_f64_e32 v[11:12], v[155:156], v[11:12]
	v_fma_f64 v[155:156], v[165:166], s[12:13], v[242:243]
	v_fma_f64 v[224:225], v[187:188], s[14:15], v[235:236]
	v_mul_f64_e32 v[242:243], s[40:41], v[195:196]
	s_delay_alu instid0(VALU_DEP_3) | instskip(SKIP_2) | instid1(VALU_DEP_2)
	v_add_f64_e32 v[153:154], v[155:156], v[153:154]
	v_fma_f64 v[155:156], v[175:176], s[10:11], -v[244:245]
	v_mul_f64_e32 v[244:245], s[34:35], v[185:186]
	v_add_f64_e32 v[11:12], v[155:156], v[11:12]
	v_fma_f64 v[155:156], v[181:182], s[28:29], v[246:247]
	v_mul_f64_e32 v[246:247], s[20:21], v[183:184]
	s_delay_alu instid0(VALU_DEP_2) | instskip(SKIP_2) | instid1(VALU_DEP_3)
	v_add_f64_e32 v[153:154], v[155:156], v[153:154]
	v_fma_f64 v[155:156], v[179:180], s[16:17], -v[248:249]
	v_mul_f64_e32 v[248:249], s[18:19], v[193:194]
	v_add_f64_e32 v[9:10], v[9:10], v[153:154]
	s_delay_alu instid0(VALU_DEP_3) | instskip(NEXT) | instid1(VALU_DEP_2)
	v_add_f64_e32 v[11:12], v[155:156], v[11:12]
	v_add_f64_e32 v[155:156], v[15:16], v[9:10]
	s_delay_alu instid0(VALU_DEP_2) | instskip(SKIP_2) | instid1(VALU_DEP_2)
	v_add_f64_e32 v[153:154], v[13:14], v[11:12]
	v_mul_f64_e32 v[9:10], s[12:13], v[203:204]
	v_mul_f64_e32 v[13:14], s[8:9], v[201:202]
	v_fma_f64 v[11:12], v[167:168], s[8:9], v[9:10]
	s_delay_alu instid0(VALU_DEP_2) | instskip(SKIP_2) | instid1(VALU_DEP_4)
	v_fma_f64 v[15:16], v[197:198], s[26:27], v[13:14]
	v_fma_f64 v[9:10], v[167:168], s[8:9], -v[9:10]
	v_fma_f64 v[13:14], v[197:198], s[12:13], v[13:14]
	v_add_f64_e32 v[11:12], v[11:12], v[226:227]
	s_delay_alu instid0(VALU_DEP_4) | instskip(SKIP_4) | instid1(VALU_DEP_4)
	v_add_f64_e32 v[15:16], v[15:16], v[237:238]
	v_mul_f64_e32 v[237:238], s[14:15], v[171:172]
	v_add_f64_e32 v[9:10], v[9:10], v[231:232]
	v_add_f64_e32 v[13:14], v[13:14], v[222:223]
	;; [unrolled: 1-line block ×3, first 2 shown]
	v_fma_f64 v[224:225], v[165:166], s[22:23], v[237:238]
	s_delay_alu instid0(VALU_DEP_1) | instskip(SKIP_1) | instid1(VALU_DEP_1)
	v_add_f64_e32 v[15:16], v[224:225], v[15:16]
	v_fma_f64 v[224:225], v[175:176], s[40:41], v[240:241]
	v_add_f64_e32 v[11:12], v[224:225], v[11:12]
	v_fma_f64 v[224:225], v[181:182], s[44:45], v[242:243]
	s_delay_alu instid0(VALU_DEP_1) | instskip(SKIP_1) | instid1(VALU_DEP_1)
	v_add_f64_e32 v[15:16], v[224:225], v[15:16]
	v_fma_f64 v[224:225], v[179:180], s[20:21], v[244:245]
	v_add_f64_e32 v[11:12], v[224:225], v[11:12]
	;; [unrolled: 5-line block ×3, first 2 shown]
	v_mul_f64_e32 v[11:12], s[10:11], v[191:192]
	s_delay_alu instid0(VALU_DEP_1) | instskip(SKIP_1) | instid1(VALU_DEP_2)
	v_fma_f64 v[226:227], v[177:178], s[28:29], v[11:12]
	v_fma_f64 v[11:12], v[177:178], s[18:19], v[11:12]
	v_add_f64_e32 v[226:227], v[226:227], v[15:16]
	v_fma_f64 v[15:16], v[187:188], s[14:15], -v[235:236]
	s_delay_alu instid0(VALU_DEP_1) | instskip(SKIP_1) | instid1(VALU_DEP_1)
	v_add_f64_e32 v[9:10], v[15:16], v[9:10]
	v_fma_f64 v[15:16], v[165:166], s[30:31], v[237:238]
	v_add_f64_e32 v[13:14], v[15:16], v[13:14]
	v_fma_f64 v[15:16], v[175:176], s[40:41], -v[240:241]
	s_delay_alu instid0(VALU_DEP_1) | instskip(SKIP_1) | instid1(VALU_DEP_1)
	v_add_f64_e32 v[9:10], v[15:16], v[9:10]
	;; [unrolled: 5-line block ×3, first 2 shown]
	v_fma_f64 v[15:16], v[173:174], s[34:35], v[246:247]
	v_add_f64_e32 v[13:14], v[15:16], v[13:14]
	v_fma_f64 v[15:16], v[189:190], s[10:11], -v[248:249]
	v_mul_f64_e32 v[248:249], s[38:39], v[193:194]
	s_delay_alu instid0(VALU_DEP_3) | instskip(SKIP_1) | instid1(VALU_DEP_4)
	v_add_f64_e32 v[242:243], v[11:12], v[13:14]
	v_mul_f64_e32 v[13:14], s[10:11], v[201:202]
	v_add_f64_e32 v[240:241], v[15:16], v[9:10]
	v_mul_f64_e32 v[9:10], s[28:29], v[203:204]
	s_delay_alu instid0(VALU_DEP_3) | instskip(NEXT) | instid1(VALU_DEP_2)
	v_fma_f64 v[15:16], v[197:198], s[18:19], v[13:14]
	v_fma_f64 v[11:12], v[167:168], s[10:11], v[9:10]
	s_delay_alu instid0(VALU_DEP_2) | instskip(SKIP_1) | instid1(VALU_DEP_3)
	v_add_f64_e32 v[1:2], v[15:16], v[1:2]
	v_mul_f64_e32 v[15:16], s[42:43], v[199:200]
	v_add_f64_e32 v[11:12], v[11:12], v[233:234]
	s_delay_alu instid0(VALU_DEP_2) | instskip(NEXT) | instid1(VALU_DEP_1)
	v_fma_f64 v[222:223], v[187:188], s[40:41], v[15:16]
	v_add_f64_e32 v[11:12], v[222:223], v[11:12]
	v_mul_f64_e32 v[222:223], s[40:41], v[171:172]
	s_delay_alu instid0(VALU_DEP_1) | instskip(NEXT) | instid1(VALU_DEP_1)
	v_fma_f64 v[231:232], v[165:166], s[44:45], v[222:223]
	v_add_f64_e32 v[1:2], v[231:232], v[1:2]
	v_mul_f64_e32 v[231:232], s[24:25], v[169:170]
	s_delay_alu instid0(VALU_DEP_1) | instskip(NEXT) | instid1(VALU_DEP_1)
	;; [unrolled: 4-line block ×5, first 2 shown]
	v_fma_f64 v[244:245], v[173:174], s[12:13], v[237:238]
	v_add_f64_e32 v[1:2], v[244:245], v[1:2]
	v_fma_f64 v[244:245], v[189:190], s[20:21], v[248:249]
	s_delay_alu instid0(VALU_DEP_1) | instskip(SKIP_1) | instid1(VALU_DEP_1)
	v_add_f64_e32 v[244:245], v[244:245], v[11:12]
	v_mul_f64_e32 v[11:12], s[20:21], v[191:192]
	v_fma_f64 v[246:247], v[177:178], s[34:35], v[11:12]
	v_fma_f64 v[11:12], v[177:178], s[38:39], v[11:12]
	s_delay_alu instid0(VALU_DEP_2) | instskip(SKIP_2) | instid1(VALU_DEP_2)
	v_add_f64_e32 v[246:247], v[246:247], v[1:2]
	v_fma_f64 v[1:2], v[167:168], s[10:11], -v[9:10]
	v_fma_f64 v[9:10], v[197:198], s[28:29], v[13:14]
	v_add_f64_e32 v[1:2], v[1:2], v[252:253]
	s_delay_alu instid0(VALU_DEP_2) | instskip(SKIP_1) | instid1(VALU_DEP_1)
	v_add_f64_e32 v[3:4], v[9:10], v[3:4]
	v_fma_f64 v[9:10], v[187:188], s[40:41], -v[15:16]
	v_add_f64_e32 v[1:2], v[9:10], v[1:2]
	v_fma_f64 v[9:10], v[165:166], s[42:43], v[222:223]
	s_delay_alu instid0(VALU_DEP_1) | instskip(SKIP_1) | instid1(VALU_DEP_1)
	v_add_f64_e32 v[3:4], v[9:10], v[3:4]
	v_fma_f64 v[9:10], v[175:176], s[16:17], -v[231:232]
	v_add_f64_e32 v[1:2], v[9:10], v[1:2]
	v_fma_f64 v[9:10], v[181:182], s[24:25], v[233:234]
	s_delay_alu instid0(VALU_DEP_1) | instskip(SKIP_1) | instid1(VALU_DEP_1)
	v_add_f64_e32 v[3:4], v[9:10], v[3:4]
	v_fma_f64 v[9:10], v[179:180], s[8:9], -v[235:236]
	v_add_f64_e32 v[1:2], v[9:10], v[1:2]
	v_fma_f64 v[9:10], v[173:174], s[26:27], v[237:238]
	s_delay_alu instid0(VALU_DEP_1) | instskip(SKIP_1) | instid1(VALU_DEP_2)
	v_add_f64_e32 v[3:4], v[9:10], v[3:4]
	v_fma_f64 v[9:10], v[189:190], s[20:21], -v[248:249]
	v_add_f64_e32 v[250:251], v[11:12], v[3:4]
	s_delay_alu instid0(VALU_DEP_2) | instskip(SKIP_2) | instid1(VALU_DEP_2)
	v_add_f64_e32 v[248:249], v[9:10], v[1:2]
	v_mul_f64_e32 v[9:10], s[16:17], v[201:202]
	v_mul_f64_e32 v[1:2], s[36:37], v[203:204]
	v_fma_f64 v[11:12], v[197:198], s[24:25], v[9:10]
	s_delay_alu instid0(VALU_DEP_2) | instskip(SKIP_1) | instid1(VALU_DEP_3)
	v_fma_f64 v[3:4], v[167:168], s[16:17], v[1:2]
	v_fma_f64 v[1:2], v[167:168], s[16:17], -v[1:2]
	v_add_f64_e32 v[5:6], v[11:12], v[5:6]
	v_mul_f64_e32 v[11:12], s[34:35], v[199:200]
	s_delay_alu instid0(VALU_DEP_4) | instskip(NEXT) | instid1(VALU_DEP_4)
	v_add_f64_e32 v[3:4], v[3:4], v[254:255]
	v_add_f64_e32 v[1:2], v[1:2], v[228:229]
	v_mul_f64_e32 v[228:229], s[14:15], v[183:184]
	s_delay_alu instid0(VALU_DEP_4) | instskip(NEXT) | instid1(VALU_DEP_1)
	v_fma_f64 v[13:14], v[187:188], s[20:21], v[11:12]
	v_add_f64_e32 v[3:4], v[13:14], v[3:4]
	v_mul_f64_e32 v[13:14], s[20:21], v[171:172]
	s_delay_alu instid0(VALU_DEP_1) | instskip(NEXT) | instid1(VALU_DEP_1)
	v_fma_f64 v[15:16], v[165:166], s[38:39], v[13:14]
	v_add_f64_e32 v[5:6], v[15:16], v[5:6]
	v_mul_f64_e32 v[15:16], s[26:27], v[169:170]
	s_delay_alu instid0(VALU_DEP_1) | instskip(NEXT) | instid1(VALU_DEP_1)
	;; [unrolled: 4-line block ×4, first 2 shown]
	v_fma_f64 v[233:234], v[179:180], s[40:41], v[231:232]
	v_add_f64_e32 v[3:4], v[233:234], v[3:4]
	v_mul_f64_e32 v[233:234], s[40:41], v[183:184]
	v_mul_f64_e32 v[183:184], s[10:11], v[183:184]
	s_delay_alu instid0(VALU_DEP_2) | instskip(NEXT) | instid1(VALU_DEP_1)
	v_fma_f64 v[235:236], v[173:174], s[44:45], v[233:234]
	v_add_f64_e32 v[5:6], v[235:236], v[5:6]
	v_mul_f64_e32 v[235:236], s[22:23], v[193:194]
	s_delay_alu instid0(VALU_DEP_1) | instskip(NEXT) | instid1(VALU_DEP_1)
	v_fma_f64 v[237:238], v[189:190], s[14:15], v[235:236]
	v_add_f64_e32 v[252:253], v[237:238], v[3:4]
	v_mul_f64_e32 v[3:4], s[14:15], v[191:192]
	s_delay_alu instid0(VALU_DEP_1) | instskip(SKIP_1) | instid1(VALU_DEP_2)
	v_fma_f64 v[237:238], v[177:178], s[30:31], v[3:4]
	v_fma_f64 v[3:4], v[177:178], s[22:23], v[3:4]
	v_add_f64_e32 v[254:255], v[237:238], v[5:6]
	v_fma_f64 v[5:6], v[197:198], s[36:37], v[9:10]
	v_mul_f64_e32 v[9:10], s[18:19], v[199:200]
	s_delay_alu instid0(VALU_DEP_2) | instskip(SKIP_1) | instid1(VALU_DEP_3)
	v_add_f64_e32 v[5:6], v[5:6], v[7:8]
	v_fma_f64 v[7:8], v[187:188], s[20:21], -v[11:12]
	v_fma_f64 v[11:12], v[187:188], s[10:11], v[9:10]
	s_delay_alu instid0(VALU_DEP_2) | instskip(SKIP_1) | instid1(VALU_DEP_1)
	v_add_f64_e32 v[1:2], v[7:8], v[1:2]
	v_fma_f64 v[7:8], v[165:166], s[34:35], v[13:14]
	v_add_f64_e32 v[5:6], v[7:8], v[5:6]
	v_fma_f64 v[7:8], v[175:176], s[8:9], -v[15:16]
	s_delay_alu instid0(VALU_DEP_1) | instskip(SKIP_3) | instid1(VALU_DEP_3)
	v_add_f64_e32 v[1:2], v[7:8], v[1:2]
	v_fma_f64 v[7:8], v[181:182], s[26:27], v[222:223]
	v_mul_f64_e32 v[222:223], s[22:23], v[185:186]
	v_mul_f64_e32 v[185:186], s[18:19], v[185:186]
	v_add_f64_e32 v[5:6], v[7:8], v[5:6]
	v_fma_f64 v[7:8], v[179:180], s[40:41], -v[231:232]
	s_delay_alu instid0(VALU_DEP_1) | instskip(SKIP_1) | instid1(VALU_DEP_1)
	v_add_f64_e32 v[1:2], v[7:8], v[1:2]
	v_fma_f64 v[7:8], v[173:174], s[42:43], v[233:234]
	v_add_f64_e32 v[5:6], v[7:8], v[5:6]
	v_fma_f64 v[7:8], v[189:190], s[14:15], -v[235:236]
	v_mul_f64_e32 v[235:236], s[36:37], v[193:194]
	v_mul_f64_e32 v[193:194], s[12:13], v[193:194]
	s_delay_alu instid0(VALU_DEP_4) | instskip(NEXT) | instid1(VALU_DEP_4)
	v_add_f64_e32 v[233:234], v[3:4], v[5:6]
	v_add_f64_e32 v[231:232], v[7:8], v[1:2]
	v_mul_f64_e32 v[1:2], s[42:43], v[203:204]
	v_mul_f64_e32 v[5:6], s[40:41], v[201:202]
	s_delay_alu instid0(VALU_DEP_2) | instskip(NEXT) | instid1(VALU_DEP_2)
	v_fma_f64 v[3:4], v[167:168], s[40:41], v[1:2]
	v_fma_f64 v[7:8], v[197:198], s[44:45], v[5:6]
	v_fma_f64 v[1:2], v[167:168], s[40:41], -v[1:2]
	v_fma_f64 v[5:6], v[197:198], s[42:43], v[5:6]
	s_delay_alu instid0(VALU_DEP_4) | instskip(NEXT) | instid1(VALU_DEP_4)
	v_add_f64_e32 v[3:4], v[3:4], v[220:221]
	v_add_f64_e32 v[7:8], v[7:8], v[218:219]
	s_delay_alu instid0(VALU_DEP_4) | instskip(NEXT) | instid1(VALU_DEP_4)
	v_add_f64_e32 v[1:2], v[1:2], v[216:217]
	v_add_f64_e32 v[5:6], v[5:6], v[214:215]
	s_delay_alu instid0(VALU_DEP_4) | instskip(SKIP_1) | instid1(VALU_DEP_1)
	v_add_f64_e32 v[3:4], v[11:12], v[3:4]
	v_mul_f64_e32 v[11:12], s[10:11], v[171:172]
	v_fma_f64 v[13:14], v[165:166], s[28:29], v[11:12]
	s_delay_alu instid0(VALU_DEP_1) | instskip(SKIP_1) | instid1(VALU_DEP_1)
	v_add_f64_e32 v[7:8], v[13:14], v[7:8]
	v_mul_f64_e32 v[13:14], s[38:39], v[169:170]
	v_fma_f64 v[15:16], v[175:176], s[20:21], v[13:14]
	s_delay_alu instid0(VALU_DEP_1) | instskip(SKIP_1) | instid1(VALU_DEP_1)
	;; [unrolled: 4-line block ×3, first 2 shown]
	v_add_f64_e32 v[7:8], v[218:219], v[7:8]
	v_fma_f64 v[218:219], v[179:180], s[14:15], v[222:223]
	v_add_f64_e32 v[3:4], v[218:219], v[3:4]
	v_fma_f64 v[218:219], v[173:174], s[30:31], v[228:229]
	s_delay_alu instid0(VALU_DEP_1) | instskip(SKIP_1) | instid1(VALU_DEP_1)
	v_add_f64_e32 v[7:8], v[218:219], v[7:8]
	v_fma_f64 v[218:219], v[189:190], s[16:17], v[235:236]
	v_add_f64_e32 v[218:219], v[218:219], v[3:4]
	v_mul_f64_e32 v[3:4], s[16:17], v[191:192]
	v_mul_f64_e32 v[191:192], s[8:9], v[191:192]
	s_delay_alu instid0(VALU_DEP_2) | instskip(SKIP_1) | instid1(VALU_DEP_2)
	v_fma_f64 v[220:221], v[177:178], s[24:25], v[3:4]
	v_fma_f64 v[3:4], v[177:178], s[36:37], v[3:4]
	v_add_f64_e32 v[220:221], v[220:221], v[7:8]
	v_fma_f64 v[7:8], v[187:188], s[10:11], -v[9:10]
	v_mul_f64_e32 v[9:10], s[24:25], v[199:200]
	s_delay_alu instid0(VALU_DEP_2) | instskip(SKIP_1) | instid1(VALU_DEP_3)
	v_add_f64_e32 v[1:2], v[7:8], v[1:2]
	v_fma_f64 v[7:8], v[165:166], s[18:19], v[11:12]
	v_fma_f64 v[11:12], v[187:188], s[16:17], -v[9:10]
	s_delay_alu instid0(VALU_DEP_2) | instskip(SKIP_1) | instid1(VALU_DEP_1)
	v_add_f64_e32 v[5:6], v[7:8], v[5:6]
	v_fma_f64 v[7:8], v[175:176], s[20:21], -v[13:14]
	v_add_f64_e32 v[1:2], v[7:8], v[1:2]
	v_fma_f64 v[7:8], v[181:182], s[38:39], v[15:16]
	s_delay_alu instid0(VALU_DEP_1) | instskip(SKIP_1) | instid1(VALU_DEP_1)
	v_add_f64_e32 v[5:6], v[7:8], v[5:6]
	v_fma_f64 v[7:8], v[179:180], s[14:15], -v[222:223]
	v_add_f64_e32 v[1:2], v[7:8], v[1:2]
	v_fma_f64 v[7:8], v[173:174], s[22:23], v[228:229]
	s_delay_alu instid0(VALU_DEP_1) | instskip(SKIP_1) | instid1(VALU_DEP_2)
	v_add_f64_e32 v[5:6], v[7:8], v[5:6]
	v_fma_f64 v[7:8], v[189:190], s[16:17], -v[235:236]
	v_add_f64_e32 v[216:217], v[3:4], v[5:6]
	s_delay_alu instid0(VALU_DEP_2) | instskip(SKIP_2) | instid1(VALU_DEP_2)
	v_add_f64_e32 v[214:215], v[7:8], v[1:2]
	v_mul_f64_e32 v[1:2], s[34:35], v[203:204]
	v_mul_f64_e32 v[5:6], s[20:21], v[201:202]
	v_fma_f64 v[3:4], v[167:168], s[20:21], -v[1:2]
	s_delay_alu instid0(VALU_DEP_2) | instskip(SKIP_1) | instid1(VALU_DEP_3)
	v_fma_f64 v[7:8], v[197:198], s[34:35], v[5:6]
	v_fma_f64 v[1:2], v[167:168], s[20:21], v[1:2]
	v_add_f64_e32 v[3:4], v[3:4], v[212:213]
	s_delay_alu instid0(VALU_DEP_3) | instskip(NEXT) | instid1(VALU_DEP_3)
	v_add_f64_e32 v[7:8], v[7:8], v[210:211]
	v_add_f64_e32 v[1:2], v[1:2], v[206:207]
	scratch_load_b32 v206, off, off offset:100 ; 4-byte Folded Reload
	global_wb scope:SCOPE_SE
	s_wait_loadcnt 0x0
	s_barrier_signal -1
	s_barrier_wait -1
	global_inv scope:SCOPE_SE
	v_add_f64_e32 v[3:4], v[11:12], v[3:4]
	v_mul_f64_e32 v[11:12], s[16:17], v[171:172]
	s_delay_alu instid0(VALU_DEP_1) | instskip(NEXT) | instid1(VALU_DEP_1)
	v_fma_f64 v[13:14], v[165:166], s[24:25], v[11:12]
	v_add_f64_e32 v[7:8], v[13:14], v[7:8]
	v_mul_f64_e32 v[13:14], s[22:23], v[169:170]
	s_delay_alu instid0(VALU_DEP_1) | instskip(NEXT) | instid1(VALU_DEP_1)
	v_fma_f64 v[15:16], v[175:176], s[14:15], -v[13:14]
	v_add_f64_e32 v[3:4], v[15:16], v[3:4]
	v_mul_f64_e32 v[15:16], s[14:15], v[195:196]
	s_delay_alu instid0(VALU_DEP_1) | instskip(NEXT) | instid1(VALU_DEP_1)
	v_fma_f64 v[169:170], v[181:182], s[22:23], v[15:16]
	v_add_f64_e32 v[7:8], v[169:170], v[7:8]
	v_fma_f64 v[169:170], v[179:180], s[10:11], -v[185:186]
	s_delay_alu instid0(VALU_DEP_1) | instskip(SKIP_1) | instid1(VALU_DEP_1)
	v_add_f64_e32 v[3:4], v[169:170], v[3:4]
	v_fma_f64 v[169:170], v[173:174], s[18:19], v[183:184]
	v_add_f64_e32 v[7:8], v[169:170], v[7:8]
	v_fma_f64 v[169:170], v[189:190], s[8:9], -v[193:194]
	s_delay_alu instid0(VALU_DEP_1) | instskip(SKIP_1) | instid1(VALU_DEP_1)
	v_add_f64_e32 v[169:170], v[169:170], v[3:4]
	v_fma_f64 v[3:4], v[177:178], s[12:13], v[191:192]
	v_add_f64_e32 v[171:172], v[3:4], v[7:8]
	v_fma_f64 v[3:4], v[197:198], s[38:39], v[5:6]
	v_fma_f64 v[5:6], v[187:188], s[16:17], v[9:10]
	;; [unrolled: 1-line block ×5, first 2 shown]
	v_add_f64_e32 v[3:4], v[3:4], v[208:209]
	v_add_f64_e32 v[1:2], v[5:6], v[1:2]
	v_fma_f64 v[5:6], v[179:180], s[10:11], v[185:186]
	s_delay_alu instid0(VALU_DEP_3) | instskip(SKIP_1) | instid1(VALU_DEP_4)
	v_add_f64_e32 v[3:4], v[7:8], v[3:4]
	v_fma_f64 v[7:8], v[173:174], s[28:29], v[183:184]
	v_add_f64_e32 v[1:2], v[9:10], v[1:2]
	v_fma_f64 v[9:10], v[189:190], s[8:9], v[193:194]
	s_delay_alu instid0(VALU_DEP_4) | instskip(SKIP_1) | instid1(VALU_DEP_4)
	v_add_f64_e32 v[3:4], v[11:12], v[3:4]
	v_fma_f64 v[11:12], v[177:178], s[26:27], v[191:192]
	v_add_f64_e32 v[1:2], v[5:6], v[1:2]
	s_delay_alu instid0(VALU_DEP_3) | instskip(NEXT) | instid1(VALU_DEP_2)
	v_add_f64_e32 v[3:4], v[7:8], v[3:4]
	v_add_f64_e32 v[165:166], v[9:10], v[1:2]
	s_delay_alu instid0(VALU_DEP_2)
	v_add_f64_e32 v[167:168], v[11:12], v[3:4]
	ds_store_b128 v230, v[161:164] offset:32
	ds_store_b128 v230, v[224:227] offset:48
	;; [unrolled: 1-line block ×12, first 2 shown]
	ds_store_b128 v230, v[157:160]
	global_wb scope:SCOPE_SE
	s_wait_dscnt 0x0
	s_barrier_signal -1
	s_barrier_wait -1
	global_inv scope:SCOPE_SE
	ds_load_b128 v[153:156], v239
	ds_load_b128 v[157:160], v0 offset:512
	ds_load_b128 v[161:164], v0 offset:3328
	;; [unrolled: 1-line block ×11, first 2 shown]
	s_and_saveexec_b32 s1, vcc_lo
	s_cbranch_execz .LBB0_11
; %bb.10:
	ds_load_b128 v[169:172], v206 offset:3072
	ds_load_b128 v[149:152], v0 offset:6400
.LBB0_11:
	s_wait_alu 0xfffe
	s_or_b32 exec_lo, exec_lo, s1
	s_wait_dscnt 0x9
	v_mul_f64_e32 v[1:2], v[63:64], v[163:164]
	v_mul_f64_e32 v[3:4], v[63:64], v[161:162]
	global_wb scope:SCOPE_SE
	s_wait_dscnt 0x0
	s_barrier_signal -1
	s_barrier_wait -1
	global_inv scope:SCOPE_SE
	v_mul_f64_e32 v[5:6], v[59:60], v[175:176]
	v_mul_f64_e32 v[7:8], v[59:60], v[173:174]
	;; [unrolled: 1-line block ×12, first 2 shown]
	v_fma_f64 v[1:2], v[61:62], v[161:162], v[1:2]
	v_fma_f64 v[3:4], v[61:62], v[163:164], -v[3:4]
	v_fma_f64 v[5:6], v[57:58], v[173:174], v[5:6]
	v_fma_f64 v[7:8], v[57:58], v[175:176], -v[7:8]
	v_fma_f64 v[57:58], v[81:82], v[197:198], v[59:60]
	v_fma_f64 v[59:60], v[81:82], v[199:200], -v[63:64]
	v_fma_f64 v[13:14], v[77:78], v[193:194], v[13:14]
	v_fma_f64 v[15:16], v[77:78], v[195:196], -v[15:16]
	v_fma_f64 v[81:82], v[65:66], v[149:150], v[79:80]
	v_fma_f64 v[83:84], v[65:66], v[151:152], -v[67:68]
	v_fma_f64 v[9:10], v[73:74], v[189:190], v[9:10]
	v_fma_f64 v[11:12], v[73:74], v[191:192], -v[11:12]
	v_fma_f64 v[73:74], v[69:70], v[201:202], v[75:76]
	v_fma_f64 v[75:76], v[69:70], v[203:204], -v[71:72]
	v_add_f64_e64 v[61:62], v[153:154], -v[1:2]
	scratch_load_b32 v1, off, off offset:92 th:TH_LOAD_LU ; 4-byte Folded Reload
	v_add_f64_e64 v[63:64], v[155:156], -v[3:4]
	v_add_f64_e64 v[65:66], v[157:158], -v[5:6]
	;; [unrolled: 1-line block ×13, first 2 shown]
	v_fma_f64 v[57:58], v[153:154], 2.0, -v[61:62]
	v_fma_f64 v[59:60], v[155:156], 2.0, -v[63:64]
	s_wait_loadcnt 0x0
	ds_store_b128 v1, v[57:60]
	ds_store_b128 v1, v[61:64] offset:208
	scratch_load_b32 v1, off, off offset:96 th:TH_LOAD_LU ; 4-byte Folded Reload
	v_fma_f64 v[73:74], v[157:158], 2.0, -v[65:66]
	v_fma_f64 v[75:76], v[159:160], 2.0, -v[67:68]
	;; [unrolled: 1-line block ×12, first 2 shown]
	s_wait_loadcnt 0x0
	ds_store_b128 v1, v[73:76]
	ds_store_b128 v1, v[65:68] offset:208
	scratch_load_b32 v1, off, off offset:88 th:TH_LOAD_LU ; 4-byte Folded Reload
	s_wait_loadcnt 0x0
	ds_store_b128 v1, v[81:84]
	ds_store_b128 v1, v[69:72] offset:208
	scratch_load_b32 v1, off, off offset:84 th:TH_LOAD_LU ; 4-byte Folded Reload
	;; [unrolled: 4-line block ×4, first 2 shown]
	s_wait_loadcnt 0x0
	ds_store_b128 v1, v[165:168]
	ds_store_b128 v1, v[161:164] offset:208
	s_and_saveexec_b32 s1, vcc_lo
	s_cbranch_execz .LBB0_13
; %bb.12:
	s_clause 0x1
	scratch_load_b32 v1, off, off offset:72 th:TH_LOAD_LU
	scratch_load_b32 v2, off, off offset:68 th:TH_LOAD_LU
	s_wait_loadcnt 0x1
	v_mul_u32_u24_e32 v1, 26, v1
	s_wait_loadcnt 0x0
	s_delay_alu instid0(VALU_DEP_1)
	v_add_nc_u32_e32 v1, v1, v2
	scratch_load_b32 v2, off, off offset:104 th:TH_LOAD_LU ; 4-byte Folded Reload
	s_wait_loadcnt 0x0
	v_lshl_add_u32 v1, v1, 4, v2
	ds_store_b128 v1, v[169:172]
	ds_store_b128 v1, v[173:176] offset:208
.LBB0_13:
	s_wait_alu 0xfffe
	s_or_b32 exec_lo, exec_lo, s1
	global_wb scope:SCOPE_SE
	s_wait_dscnt 0x0
	s_barrier_signal -1
	s_barrier_wait -1
	global_inv scope:SCOPE_SE
	s_and_saveexec_b32 s1, s0
	s_cbranch_execz .LBB0_15
; %bb.14:
	ds_load_b128 v[57:60], v239
	ds_load_b128 v[61:64], v0 offset:416
	ds_load_b128 v[73:76], v0 offset:832
	;; [unrolled: 1-line block ×15, first 2 shown]
.LBB0_15:
	s_wait_alu 0xfffe
	s_or_b32 exec_lo, exec_lo, s1
	s_and_saveexec_b32 s10, s0
	s_cbranch_execz .LBB0_17
; %bb.16:
	s_wait_dscnt 0xd
	v_mul_f64_e32 v[1:2], v[95:96], v[73:74]
	s_wait_dscnt 0x5
	v_mul_f64_e32 v[3:4], v[131:132], v[165:166]
	v_mul_f64_e32 v[5:6], v[111:112], v[155:156]
	s_wait_dscnt 0x1
	v_mul_f64_e32 v[7:8], v[135:136], v[143:144]
	v_mul_f64_e32 v[9:10], v[103:104], v[157:158]
	;; [unrolled: 1-line block ×11, first 2 shown]
	s_wait_dscnt 0x0
	v_mul_f64_e32 v[181:182], v[139:140], v[147:148]
	v_mul_f64_e32 v[183:184], v[55:56], v[61:62]
	v_mul_f64_e32 v[185:186], v[123:124], v[149:150]
	v_mul_f64_e32 v[187:188], v[99:100], v[71:72]
	v_mul_f64_e32 v[189:190], v[127:128], v[175:176]
	v_mul_f64_e32 v[107:108], v[107:108], v[77:78]
	v_mul_f64_e32 v[139:140], v[139:140], v[145:146]
	v_mul_f64_e32 v[91:92], v[91:92], v[67:68]
	v_mul_f64_e32 v[119:120], v[119:120], v[163:164]
	v_mul_f64_e32 v[99:100], v[99:100], v[69:70]
	v_mul_f64_e32 v[127:128], v[127:128], v[173:174]
	v_mul_f64_e32 v[55:56], v[55:56], v[63:64]
	v_mul_f64_e32 v[123:124], v[123:124], v[151:152]
	v_mul_f64_e32 v[87:88], v[87:88], v[81:82]
	v_mul_f64_e32 v[115:116], v[115:116], v[169:170]
	v_mul_f64_e32 v[103:104], v[103:104], v[159:160]
	s_mov_b32 s0, 0x667f3bcd
	s_mov_b32 s1, 0x3fe6a09e
	;; [unrolled: 1-line block ×3, first 2 shown]
	s_wait_alu 0xfffe
	s_mov_b32 s8, s0
	s_mov_b32 s14, 0xa6aea964
	;; [unrolled: 1-line block ×4, first 2 shown]
	s_wait_alu 0xfffe
	s_mov_b32 s16, s14
	v_fma_f64 v[1:2], v[93:94], v[75:76], -v[1:2]
	v_fma_f64 v[3:4], v[129:130], v[167:168], -v[3:4]
	v_fma_f64 v[5:6], v[109:110], v[153:154], v[5:6]
	v_fma_f64 v[7:8], v[133:134], v[141:142], v[7:8]
	v_fma_f64 v[9:10], v[101:102], v[159:160], -v[9:10]
	v_fma_f64 v[11:12], v[85:86], v[81:82], v[11:12]
	v_fma_f64 v[13:14], v[113:114], v[169:170], v[13:14]
	v_fma_f64 v[15:16], v[109:110], v[155:156], -v[15:16]
	v_fma_f64 v[75:76], v[133:134], v[143:144], -v[111:112]
	v_fma_f64 v[73:74], v[93:94], v[73:74], v[95:96]
	v_fma_f64 v[81:82], v[129:130], v[165:166], v[131:132]
	v_fma_f64 v[67:68], v[89:90], v[67:68], -v[135:136]
	v_fma_f64 v[93:94], v[117:118], v[163:164], -v[177:178]
	v_fma_f64 v[77:78], v[105:106], v[77:78], v[179:180]
	v_fma_f64 v[95:96], v[137:138], v[145:146], v[181:182]
	v_fma_f64 v[63:64], v[53:54], v[63:64], -v[183:184]
	v_fma_f64 v[109:110], v[121:122], v[151:152], -v[185:186]
	v_fma_f64 v[69:70], v[97:98], v[69:70], v[187:188]
	v_fma_f64 v[111:112], v[125:126], v[173:174], v[189:190]
	v_fma_f64 v[79:80], v[105:106], v[79:80], -v[107:108]
	v_fma_f64 v[105:106], v[137:138], v[147:148], -v[139:140]
	v_fma_f64 v[65:66], v[89:90], v[65:66], v[91:92]
	v_fma_f64 v[89:90], v[117:118], v[161:162], v[119:120]
	v_fma_f64 v[71:72], v[97:98], v[71:72], -v[99:100]
	v_fma_f64 v[91:92], v[125:126], v[175:176], -v[127:128]
	v_fma_f64 v[53:54], v[53:54], v[61:62], v[55:56]
	v_fma_f64 v[55:56], v[121:122], v[149:150], v[123:124]
	v_fma_f64 v[61:62], v[85:86], v[83:84], -v[87:88]
	v_fma_f64 v[83:84], v[113:114], v[171:172], -v[115:116]
	v_fma_f64 v[85:86], v[101:102], v[157:158], v[103:104]
	s_mov_b32 s12, 0xcf328d46
	s_mov_b32 s13, 0x3fed906b
	;; [unrolled: 1-line block ×3, first 2 shown]
	s_wait_alu 0xfffe
	s_mov_b32 s18, s12
	v_add_f64_e64 v[3:4], v[1:2], -v[3:4]
	v_add_f64_e64 v[7:8], v[5:6], -v[7:8]
	;; [unrolled: 1-line block ×16, first 2 shown]
	v_fma_f64 v[1:2], v[1:2], 2.0, -v[3:4]
	v_add_f64_e64 v[103:104], v[3:4], -v[7:8]
	v_fma_f64 v[59:60], v[59:60], 2.0, -v[9:10]
	v_fma_f64 v[5:6], v[5:6], 2.0, -v[7:8]
	v_add_f64_e64 v[101:102], v[9:10], -v[13:14]
	v_fma_f64 v[11:12], v[11:12], 2.0, -v[13:14]
	v_fma_f64 v[15:16], v[15:16], 2.0, -v[75:76]
	v_add_f64_e32 v[105:106], v[75:76], v[81:82]
	v_fma_f64 v[73:74], v[73:74], 2.0, -v[81:82]
	v_fma_f64 v[13:14], v[67:68], 2.0, -v[87:88]
	v_add_f64_e64 v[109:110], v[87:88], -v[93:94]
	v_fma_f64 v[77:78], v[77:78], 2.0, -v[93:94]
	v_fma_f64 v[63:64], v[63:64], 2.0, -v[95:96]
	v_add_f64_e64 v[107:108], v[95:96], -v[97:98]
	v_fma_f64 v[69:70], v[69:70], 2.0, -v[97:98]
	v_fma_f64 v[67:68], v[79:80], 2.0, -v[99:100]
	v_add_f64_e32 v[111:112], v[99:100], v[89:90]
	v_fma_f64 v[65:66], v[65:66], 2.0, -v[89:90]
	v_fma_f64 v[71:72], v[71:72], 2.0, -v[91:92]
	v_add_f64_e32 v[113:114], v[91:92], v[55:56]
	;; [unrolled: 3-line block ×3, first 2 shown]
	v_fma_f64 v[57:58], v[57:58], 2.0, -v[85:86]
	v_fma_f64 v[3:4], v[3:4], 2.0, -v[103:104]
	;; [unrolled: 1-line block ×3, first 2 shown]
	v_add_f64_e64 v[15:16], v[1:2], -v[15:16]
	v_fma_f64 v[9:10], v[81:82], 2.0, -v[105:106]
	v_add_f64_e64 v[5:6], v[73:74], -v[5:6]
	v_fma_f64 v[79:80], v[87:88], 2.0, -v[109:110]
	v_fma_f64 v[75:76], v[95:96], 2.0, -v[107:108]
	v_fma_f64 v[87:88], v[109:110], s[0:1], v[107:108]
	v_add_f64_e64 v[67:68], v[13:14], -v[67:68]
	v_fma_f64 v[81:82], v[89:90], 2.0, -v[111:112]
	v_add_f64_e64 v[77:78], v[65:66], -v[77:78]
	v_add_f64_e64 v[71:72], v[63:64], -v[71:72]
	v_fma_f64 v[55:56], v[55:56], 2.0, -v[113:114]
	v_add_f64_e64 v[69:70], v[53:54], -v[69:70]
	v_add_f64_e64 v[61:62], v[59:60], -v[61:62]
	v_fma_f64 v[83:84], v[85:86], 2.0, -v[115:116]
	v_fma_f64 v[85:86], v[103:104], s[0:1], v[101:102]
	v_add_f64_e64 v[11:12], v[57:58], -v[11:12]
	v_fma_f64 v[89:90], v[111:112], s[0:1], v[113:114]
	v_fma_f64 v[91:92], v[105:106], s[0:1], v[115:116]
	v_fma_f64 v[93:94], v[3:4], s[8:9], v[7:8]
	v_fma_f64 v[1:2], v[1:2], 2.0, -v[15:16]
	v_fma_f64 v[73:74], v[73:74], 2.0, -v[5:6]
	v_fma_f64 v[95:96], v[79:80], s[8:9], v[75:76]
	v_fma_f64 v[87:88], v[111:112], s[8:9], v[87:88]
	v_fma_f64 v[13:14], v[13:14], 2.0, -v[67:68]
	v_fma_f64 v[65:66], v[65:66], 2.0, -v[77:78]
	;; [unrolled: 1-line block ×3, first 2 shown]
	v_add_f64_e64 v[77:78], v[71:72], -v[77:78]
	v_fma_f64 v[97:98], v[81:82], s[8:9], v[55:56]
	v_fma_f64 v[53:54], v[53:54], 2.0, -v[69:70]
	v_fma_f64 v[59:60], v[59:60], 2.0, -v[61:62]
	v_fma_f64 v[99:100], v[9:10], s[8:9], v[83:84]
	v_fma_f64 v[85:86], v[105:106], s[8:9], v[85:86]
	v_fma_f64 v[57:58], v[57:58], 2.0, -v[11:12]
	v_fma_f64 v[89:90], v[109:110], s[0:1], v[89:90]
	v_fma_f64 v[109:110], v[103:104], s[0:1], v[91:92]
	v_add_f64_e64 v[5:6], v[61:62], -v[5:6]
	v_add_f64_e32 v[67:68], v[67:68], v[69:70]
	v_add_f64_e32 v[15:16], v[11:12], v[15:16]
	v_fma_f64 v[9:10], v[9:10], s[8:9], v[93:94]
	v_fma_f64 v[81:82], v[81:82], s[8:9], v[95:96]
	v_fma_f64 v[91:92], v[107:108], 2.0, -v[87:88]
	v_add_f64_e64 v[13:14], v[63:64], -v[13:14]
	v_fma_f64 v[95:96], v[71:72], 2.0, -v[77:78]
	v_fma_f64 v[79:80], v[79:80], s[0:1], v[97:98]
	v_add_f64_e64 v[65:66], v[53:54], -v[65:66]
	v_add_f64_e64 v[1:2], v[59:60], -v[1:2]
	v_fma_f64 v[3:4], v[3:4], s[0:1], v[99:100]
	v_fma_f64 v[97:98], v[101:102], 2.0, -v[85:86]
	v_add_f64_e64 v[93:94], v[57:58], -v[73:74]
	v_fma_f64 v[73:74], v[113:114], 2.0, -v[89:90]
	v_fma_f64 v[105:106], v[115:116], 2.0, -v[109:110]
	;; [unrolled: 1-line block ×5, first 2 shown]
	v_fma_f64 v[61:62], v[77:78], s[0:1], v[5:6]
	v_fma_f64 v[117:118], v[67:68], s[0:1], v[15:16]
	;; [unrolled: 1-line block ×3, first 2 shown]
	v_fma_f64 v[7:8], v[7:8], 2.0, -v[9:10]
	v_fma_f64 v[101:102], v[75:76], 2.0, -v[81:82]
	v_fma_f64 v[75:76], v[81:82], s[16:17], v[9:10]
	v_fma_f64 v[71:72], v[63:64], 2.0, -v[13:14]
	v_fma_f64 v[103:104], v[55:56], 2.0, -v[79:80]
	;; [unrolled: 1-line block ×5, first 2 shown]
	v_fma_f64 v[69:70], v[91:92], s[14:15], v[97:98]
	v_fma_f64 v[115:116], v[57:58], 2.0, -v[93:94]
	v_fma_f64 v[83:84], v[79:80], s[16:17], v[3:4]
	v_fma_f64 v[57:58], v[73:74], s[14:15], v[105:106]
	;; [unrolled: 1-line block ×6, first 2 shown]
	v_add_f64_e64 v[63:64], v[1:2], -v[65:66]
	v_add_f64_e32 v[61:62], v[93:94], v[13:14]
	s_wait_alu 0xfffe
	v_fma_f64 v[123:124], v[101:102], s[18:19], v[7:8]
	v_fma_f64 v[75:76], v[79:80], s[18:19], v[75:76]
	v_add_f64_e64 v[71:72], v[107:108], -v[71:72]
	v_fma_f64 v[125:126], v[103:104], s[18:19], v[113:114]
	v_fma_f64 v[67:68], v[73:74], s[18:19], v[69:70]
	v_add_f64_e64 v[69:70], v[115:116], -v[53:54]
	v_fma_f64 v[73:74], v[81:82], s[12:13], v[83:84]
	v_fma_f64 v[65:66], v[91:92], s[12:13], v[57:58]
	;; [unrolled: 1-line block ×7, first 2 shown]
	v_fma_f64 v[95:96], v[1:2], 2.0, -v[63:64]
	v_fma_f64 v[93:94], v[93:94], 2.0, -v[61:62]
	;; [unrolled: 1-line block ×3, first 2 shown]
	v_fma_f64 v[83:84], v[103:104], s[14:15], v[123:124]
	v_fma_f64 v[103:104], v[107:108], 2.0, -v[71:72]
	v_fma_f64 v[81:82], v[101:102], s[16:17], v[125:126]
	v_fma_f64 v[99:100], v[97:98], 2.0, -v[67:68]
	v_fma_f64 v[101:102], v[115:116], 2.0, -v[69:70]
	;; [unrolled: 1-line block ×12, first 2 shown]
	ds_store_b128 v239, v[101:104]
	ds_store_b128 v0, v[97:100] offset:1248
	ds_store_b128 v0, v[93:96] offset:1664
	;; [unrolled: 1-line block ×15, first 2 shown]
.LBB0_17:
	s_wait_alu 0xfffe
	s_or_b32 exec_lo, exec_lo, s10
	global_wb scope:SCOPE_SE
	s_wait_dscnt 0x0
	s_barrier_signal -1
	s_barrier_wait -1
	global_inv scope:SCOPE_SE
	ds_load_b128 v[53:56], v239
	ds_load_b128 v[57:60], v0 offset:512
	ds_load_b128 v[61:64], v0 offset:1024
	scratch_load_b32 v107, off, off offset:64 th:TH_LOAD_LU ; 4-byte Folded Reload
	ds_load_b128 v[65:68], v0 offset:1536
	ds_load_b128 v[69:72], v0 offset:2048
	;; [unrolled: 1-line block ×3, first 2 shown]
	s_clause 0x1
	scratch_load_b128 v[131:134], off, off offset:16 th:TH_LOAD_LU
	scratch_load_b128 v[127:130], off, off th:TH_LOAD_LU
	ds_load_b128 v[77:80], v206 offset:3072
	ds_load_b128 v[81:84], v0 offset:3584
	;; [unrolled: 1-line block ×7, first 2 shown]
	v_mad_co_u64_u32 v[1:2], null, s6, v205, 0
	s_mov_b32 s0, 0x13b13b14
	s_mov_b32 s1, 0x3f63b13b
	s_lshl_b64 s[8:9], s[4:5], 9
	s_delay_alu instid0(VALU_DEP_1) | instskip(NEXT) | instid1(VALU_DEP_1)
	v_mov_b32_e32 v0, v2
	v_mad_co_u64_u32 v[105:106], null, s7, v205, v[0:1]
	s_wait_dscnt 0x8
	v_mul_f64_e32 v[111:112], v[19:20], v[71:72]
	v_mul_f64_e32 v[19:20], v[19:20], v[69:70]
	s_wait_dscnt 0x7
	v_mul_f64_e32 v[113:114], v[23:24], v[75:76]
	v_mul_f64_e32 v[23:24], v[23:24], v[73:74]
	;; [unrolled: 3-line block ×8, first 2 shown]
	s_wait_loadcnt 0x2
	v_mad_co_u64_u32 v[3:4], null, s4, v107, 0
	s_wait_loadcnt 0x1
	v_mul_f64_e32 v[5:6], v[133:134], v[55:56]
	v_mul_f64_e32 v[7:8], v[133:134], v[53:54]
	scratch_load_b128 v[133:136], off, off offset:32 th:TH_LOAD_LU ; 16-byte Folded Reload
	s_wait_loadcnt 0x1
	v_mul_f64_e32 v[9:10], v[129:130], v[59:60]
	v_mul_f64_e32 v[11:12], v[129:130], v[57:58]
	v_mov_b32_e32 v2, v4
	s_delay_alu instid0(VALU_DEP_1) | instskip(SKIP_1) | instid1(VALU_DEP_1)
	v_mad_co_u64_u32 v[106:107], null, s5, v107, v[2:3]
	v_mov_b32_e32 v2, v105
	v_lshlrev_b64_e32 v[0:1], 4, v[1:2]
	s_delay_alu instid0(VALU_DEP_3) | instskip(NEXT) | instid1(VALU_DEP_1)
	v_mov_b32_e32 v4, v106
	v_lshlrev_b64_e32 v[2:3], 4, v[3:4]
	s_delay_alu instid0(VALU_DEP_3) | instskip(SKIP_1) | instid1(VALU_DEP_4)
	v_add_co_u32 v0, vcc_lo, s2, v0
	s_wait_alu 0xfffd
	v_add_co_ci_u32_e32 v1, vcc_lo, s3, v1, vcc_lo
	v_fma_f64 v[5:6], v[131:132], v[53:54], v[5:6]
	v_fma_f64 v[7:8], v[131:132], v[55:56], -v[7:8]
	s_wait_dscnt 0x0
	v_mul_f64_e32 v[53:54], v[51:52], v[103:104]
	v_fma_f64 v[9:10], v[127:128], v[57:58], v[9:10]
	v_fma_f64 v[11:12], v[127:128], v[59:60], -v[11:12]
	v_mul_f64_e32 v[51:52], v[51:52], v[101:102]
	v_add_co_u32 v55, vcc_lo, v0, v2
	s_wait_alu 0xfffd
	v_add_co_ci_u32_e32 v56, vcc_lo, v1, v3, vcc_lo
	s_wait_alu 0xfffe
	v_mul_f64_e32 v[0:1], s[0:1], v[5:6]
	v_mul_f64_e32 v[2:3], s[0:1], v[7:8]
	v_mul_f64_e32 v[4:5], s[0:1], v[9:10]
	v_mul_f64_e32 v[6:7], s[0:1], v[11:12]
	s_wait_loadcnt 0x0
	v_mul_f64_e32 v[13:14], v[135:136], v[63:64]
	v_mul_f64_e32 v[15:16], v[135:136], v[61:62]
	scratch_load_b128 v[135:138], off, off offset:48 th:TH_LOAD_LU ; 16-byte Folded Reload
	v_fma_f64 v[13:14], v[133:134], v[61:62], v[13:14]
	v_fma_f64 v[15:16], v[133:134], v[63:64], -v[15:16]
	v_fma_f64 v[61:62], v[17:18], v[69:70], v[111:112]
	v_fma_f64 v[18:19], v[17:18], v[71:72], -v[19:20]
	v_fma_f64 v[69:70], v[29:30], v[81:82], v[117:118]
	v_fma_f64 v[30:31], v[29:30], v[83:84], -v[31:32]
	v_fma_f64 v[71:72], v[33:34], v[85:86], v[119:120]
	v_fma_f64 v[34:35], v[33:34], v[87:88], -v[35:36]
	v_add_co_u32 v63, vcc_lo, v55, s8
	s_wait_alu 0xfffd
	v_add_co_ci_u32_e32 v64, vcc_lo, s9, v56, vcc_lo
	s_clause 0x1
	global_store_b128 v[55:56], v[0:3], off
	global_store_b128 v[63:64], v[4:7], off
	v_mul_f64_e32 v[8:9], s[0:1], v[13:14]
	v_mul_f64_e32 v[10:11], s[0:1], v[15:16]
	v_mul_f64_e32 v[16:17], s[0:1], v[61:62]
	v_mul_f64_e32 v[18:19], s[0:1], v[18:19]
	v_mul_f64_e32 v[30:31], s[0:1], v[30:31]
	v_mul_f64_e32 v[32:33], s[0:1], v[71:72]
	v_mul_f64_e32 v[34:35], s[0:1], v[34:35]
	s_wait_loadcnt 0x0
	v_mul_f64_e32 v[107:108], v[137:138], v[67:68]
	v_mul_f64_e32 v[109:110], v[137:138], v[65:66]
	s_delay_alu instid0(VALU_DEP_2) | instskip(NEXT) | instid1(VALU_DEP_2)
	v_fma_f64 v[57:58], v[135:136], v[65:66], v[107:108]
	v_fma_f64 v[59:60], v[135:136], v[67:68], -v[109:110]
	v_fma_f64 v[65:66], v[21:22], v[73:74], v[113:114]
	v_fma_f64 v[22:23], v[21:22], v[75:76], -v[23:24]
	;; [unrolled: 2-line block ×7, first 2 shown]
	v_add_co_u32 v50, vcc_lo, v63, s8
	s_wait_alu 0xfffd
	v_add_co_ci_u32_e32 v51, vcc_lo, s9, v64, vcc_lo
	v_mul_f64_e32 v[28:29], s[0:1], v[69:70]
	s_delay_alu instid0(VALU_DEP_3) | instskip(SKIP_1) | instid1(VALU_DEP_3)
	v_add_co_u32 v52, vcc_lo, v50, s8
	s_wait_alu 0xfffd
	v_add_co_ci_u32_e32 v53, vcc_lo, s9, v51, vcc_lo
	global_store_b128 v[50:51], v[8:11], off
	v_mul_f64_e32 v[12:13], s[0:1], v[57:58]
	v_mul_f64_e32 v[14:15], s[0:1], v[59:60]
	v_add_co_u32 v57, vcc_lo, v52, s8
	s_wait_alu 0xfffd
	v_add_co_ci_u32_e32 v58, vcc_lo, s9, v53, vcc_lo
	v_mul_f64_e32 v[20:21], s[0:1], v[65:66]
	v_mul_f64_e32 v[22:23], s[0:1], v[22:23]
	;; [unrolled: 1-line block ×4, first 2 shown]
	v_add_co_u32 v59, vcc_lo, v57, s8
	v_mul_f64_e32 v[36:37], s[0:1], v[73:74]
	v_mul_f64_e32 v[38:39], s[0:1], v[38:39]
	s_wait_alu 0xfffd
	v_add_co_ci_u32_e32 v60, vcc_lo, s9, v58, vcc_lo
	v_mul_f64_e32 v[0:1], s[0:1], v[75:76]
	v_mul_f64_e32 v[2:3], s[0:1], v[40:41]
	;; [unrolled: 1-line block ×6, first 2 shown]
	v_add_co_u32 v44, vcc_lo, v59, s8
	s_wait_alu 0xfffd
	v_add_co_ci_u32_e32 v45, vcc_lo, s9, v60, vcc_lo
	s_delay_alu instid0(VALU_DEP_2) | instskip(SKIP_1) | instid1(VALU_DEP_2)
	v_add_co_u32 v8, vcc_lo, v44, s8
	s_wait_alu 0xfffd
	v_add_co_ci_u32_e32 v9, vcc_lo, s9, v45, vcc_lo
	s_delay_alu instid0(VALU_DEP_2) | instskip(SKIP_1) | instid1(VALU_DEP_2)
	v_add_co_u32 v10, vcc_lo, v8, s8
	s_wait_alu 0xfffd
	v_add_co_ci_u32_e32 v11, vcc_lo, s9, v9, vcc_lo
	global_store_b128 v[52:53], v[12:15], off
	v_add_co_u32 v12, vcc_lo, v10, s8
	s_wait_alu 0xfffd
	v_add_co_ci_u32_e32 v13, vcc_lo, s9, v11, vcc_lo
	global_store_b128 v[57:58], v[16:19], off
	;; [unrolled: 4-line block ×4, first 2 shown]
	global_store_b128 v[8:9], v[28:31], off
	v_add_co_u32 v8, vcc_lo, v16, s8
	s_wait_alu 0xfffd
	v_add_co_ci_u32_e32 v9, vcc_lo, s9, v17, vcc_lo
	global_store_b128 v[10:11], v[32:35], off
	global_store_b128 v[12:13], v[36:39], off
	;; [unrolled: 1-line block ×5, first 2 shown]
.LBB0_18:
	s_nop 0
	s_sendmsg sendmsg(MSG_DEALLOC_VGPRS)
	s_endpgm
	.section	.rodata,"a",@progbits
	.p2align	6, 0x0
	.amdhsa_kernel bluestein_single_back_len416_dim1_dp_op_CI_CI
		.amdhsa_group_segment_fixed_size 13312
		.amdhsa_private_segment_fixed_size 112
		.amdhsa_kernarg_size 104
		.amdhsa_user_sgpr_count 2
		.amdhsa_user_sgpr_dispatch_ptr 0
		.amdhsa_user_sgpr_queue_ptr 0
		.amdhsa_user_sgpr_kernarg_segment_ptr 1
		.amdhsa_user_sgpr_dispatch_id 0
		.amdhsa_user_sgpr_private_segment_size 0
		.amdhsa_wavefront_size32 1
		.amdhsa_uses_dynamic_stack 0
		.amdhsa_enable_private_segment 1
		.amdhsa_system_sgpr_workgroup_id_x 1
		.amdhsa_system_sgpr_workgroup_id_y 0
		.amdhsa_system_sgpr_workgroup_id_z 0
		.amdhsa_system_sgpr_workgroup_info 0
		.amdhsa_system_vgpr_workitem_id 0
		.amdhsa_next_free_vgpr 256
		.amdhsa_next_free_sgpr 46
		.amdhsa_reserve_vcc 1
		.amdhsa_float_round_mode_32 0
		.amdhsa_float_round_mode_16_64 0
		.amdhsa_float_denorm_mode_32 3
		.amdhsa_float_denorm_mode_16_64 3
		.amdhsa_fp16_overflow 0
		.amdhsa_workgroup_processor_mode 1
		.amdhsa_memory_ordered 1
		.amdhsa_forward_progress 0
		.amdhsa_round_robin_scheduling 0
		.amdhsa_exception_fp_ieee_invalid_op 0
		.amdhsa_exception_fp_denorm_src 0
		.amdhsa_exception_fp_ieee_div_zero 0
		.amdhsa_exception_fp_ieee_overflow 0
		.amdhsa_exception_fp_ieee_underflow 0
		.amdhsa_exception_fp_ieee_inexact 0
		.amdhsa_exception_int_div_zero 0
	.end_amdhsa_kernel
	.text
.Lfunc_end0:
	.size	bluestein_single_back_len416_dim1_dp_op_CI_CI, .Lfunc_end0-bluestein_single_back_len416_dim1_dp_op_CI_CI
                                        ; -- End function
	.section	.AMDGPU.csdata,"",@progbits
; Kernel info:
; codeLenInByte = 16500
; NumSgprs: 48
; NumVgprs: 256
; ScratchSize: 112
; MemoryBound: 0
; FloatMode: 240
; IeeeMode: 1
; LDSByteSize: 13312 bytes/workgroup (compile time only)
; SGPRBlocks: 5
; VGPRBlocks: 31
; NumSGPRsForWavesPerEU: 48
; NumVGPRsForWavesPerEU: 256
; Occupancy: 5
; WaveLimiterHint : 1
; COMPUTE_PGM_RSRC2:SCRATCH_EN: 1
; COMPUTE_PGM_RSRC2:USER_SGPR: 2
; COMPUTE_PGM_RSRC2:TRAP_HANDLER: 0
; COMPUTE_PGM_RSRC2:TGID_X_EN: 1
; COMPUTE_PGM_RSRC2:TGID_Y_EN: 0
; COMPUTE_PGM_RSRC2:TGID_Z_EN: 0
; COMPUTE_PGM_RSRC2:TIDIG_COMP_CNT: 0
	.text
	.p2alignl 7, 3214868480
	.fill 96, 4, 3214868480
	.type	__hip_cuid_867ccb0601eb0874,@object ; @__hip_cuid_867ccb0601eb0874
	.section	.bss,"aw",@nobits
	.globl	__hip_cuid_867ccb0601eb0874
__hip_cuid_867ccb0601eb0874:
	.byte	0                               ; 0x0
	.size	__hip_cuid_867ccb0601eb0874, 1

	.ident	"AMD clang version 19.0.0git (https://github.com/RadeonOpenCompute/llvm-project roc-6.4.0 25133 c7fe45cf4b819c5991fe208aaa96edf142730f1d)"
	.section	".note.GNU-stack","",@progbits
	.addrsig
	.addrsig_sym __hip_cuid_867ccb0601eb0874
	.amdgpu_metadata
---
amdhsa.kernels:
  - .args:
      - .actual_access:  read_only
        .address_space:  global
        .offset:         0
        .size:           8
        .value_kind:     global_buffer
      - .actual_access:  read_only
        .address_space:  global
        .offset:         8
        .size:           8
        .value_kind:     global_buffer
      - .actual_access:  read_only
        .address_space:  global
        .offset:         16
        .size:           8
        .value_kind:     global_buffer
      - .actual_access:  read_only
        .address_space:  global
        .offset:         24
        .size:           8
        .value_kind:     global_buffer
      - .actual_access:  read_only
        .address_space:  global
        .offset:         32
        .size:           8
        .value_kind:     global_buffer
      - .offset:         40
        .size:           8
        .value_kind:     by_value
      - .address_space:  global
        .offset:         48
        .size:           8
        .value_kind:     global_buffer
      - .address_space:  global
        .offset:         56
        .size:           8
        .value_kind:     global_buffer
      - .address_space:  global
        .offset:         64
        .size:           8
        .value_kind:     global_buffer
      - .address_space:  global
        .offset:         72
        .size:           8
        .value_kind:     global_buffer
      - .offset:         80
        .size:           4
        .value_kind:     by_value
      - .address_space:  global
        .offset:         88
        .size:           8
        .value_kind:     global_buffer
      - .address_space:  global
        .offset:         96
        .size:           8
        .value_kind:     global_buffer
    .group_segment_fixed_size: 13312
    .kernarg_segment_align: 8
    .kernarg_segment_size: 104
    .language:       OpenCL C
    .language_version:
      - 2
      - 0
    .max_flat_workgroup_size: 64
    .name:           bluestein_single_back_len416_dim1_dp_op_CI_CI
    .private_segment_fixed_size: 112
    .sgpr_count:     48
    .sgpr_spill_count: 0
    .symbol:         bluestein_single_back_len416_dim1_dp_op_CI_CI.kd
    .uniform_work_group_size: 1
    .uses_dynamic_stack: false
    .vgpr_count:     256
    .vgpr_spill_count: 27
    .wavefront_size: 32
    .workgroup_processor_mode: 1
amdhsa.target:   amdgcn-amd-amdhsa--gfx1201
amdhsa.version:
  - 1
  - 2
...

	.end_amdgpu_metadata
